;; amdgpu-corpus repo=ROCm/rocFFT kind=compiled arch=gfx950 opt=O3
	.text
	.amdgcn_target "amdgcn-amd-amdhsa--gfx950"
	.amdhsa_code_object_version 6
	.protected	fft_rtc_fwd_len1904_factors_17_2_2_7_4_wgs_119_tpt_119_halfLds_sp_ip_CI_unitstride_sbrr_dirReg ; -- Begin function fft_rtc_fwd_len1904_factors_17_2_2_7_4_wgs_119_tpt_119_halfLds_sp_ip_CI_unitstride_sbrr_dirReg
	.globl	fft_rtc_fwd_len1904_factors_17_2_2_7_4_wgs_119_tpt_119_halfLds_sp_ip_CI_unitstride_sbrr_dirReg
	.p2align	8
	.type	fft_rtc_fwd_len1904_factors_17_2_2_7_4_wgs_119_tpt_119_halfLds_sp_ip_CI_unitstride_sbrr_dirReg,@function
fft_rtc_fwd_len1904_factors_17_2_2_7_4_wgs_119_tpt_119_halfLds_sp_ip_CI_unitstride_sbrr_dirReg: ; @fft_rtc_fwd_len1904_factors_17_2_2_7_4_wgs_119_tpt_119_halfLds_sp_ip_CI_unitstride_sbrr_dirReg
; %bb.0:
	s_load_dwordx2 s[8:9], s[0:1], 0x50
	s_load_dwordx4 s[4:7], s[0:1], 0x0
	s_load_dwordx2 s[10:11], s[0:1], 0x18
	v_mul_u32_u24_e32 v1, 0x227, v0
	v_add_u32_sdwa v6, s2, v1 dst_sel:DWORD dst_unused:UNUSED_PAD src0_sel:DWORD src1_sel:WORD_1
	v_mov_b32_e32 v4, 0
	s_waitcnt lgkmcnt(0)
	v_cmp_lt_u64_e64 s[2:3], s[6:7], 2
	v_mov_b32_e32 v7, v4
	s_and_b64 vcc, exec, s[2:3]
	v_mov_b64_e32 v[2:3], 0
	s_cbranch_vccnz .LBB0_8
; %bb.1:
	s_load_dwordx2 s[2:3], s[0:1], 0x10
	s_add_u32 s12, s10, 8
	s_addc_u32 s13, s11, 0
	s_mov_b64 s[14:15], 1
	v_mov_b64_e32 v[2:3], 0
	s_waitcnt lgkmcnt(0)
	s_add_u32 s16, s2, 8
	s_addc_u32 s17, s3, 0
.LBB0_2:                                ; =>This Inner Loop Header: Depth=1
	s_load_dwordx2 s[18:19], s[16:17], 0x0
                                        ; implicit-def: $vgpr8_vgpr9
	s_waitcnt lgkmcnt(0)
	v_or_b32_e32 v5, s19, v7
	v_cmp_ne_u64_e32 vcc, 0, v[4:5]
	s_and_saveexec_b64 s[2:3], vcc
	s_xor_b64 s[20:21], exec, s[2:3]
	s_cbranch_execz .LBB0_4
; %bb.3:                                ;   in Loop: Header=BB0_2 Depth=1
	v_cvt_f32_u32_e32 v1, s18
	v_cvt_f32_u32_e32 v5, s19
	s_sub_u32 s2, 0, s18
	s_subb_u32 s3, 0, s19
	v_fmac_f32_e32 v1, 0x4f800000, v5
	v_rcp_f32_e32 v1, v1
	s_nop 0
	v_mul_f32_e32 v1, 0x5f7ffffc, v1
	v_mul_f32_e32 v5, 0x2f800000, v1
	v_trunc_f32_e32 v5, v5
	v_fmac_f32_e32 v1, 0xcf800000, v5
	v_cvt_u32_f32_e32 v5, v5
	v_cvt_u32_f32_e32 v1, v1
	v_mul_lo_u32 v8, s2, v5
	v_mul_hi_u32 v10, s2, v1
	v_mul_lo_u32 v9, s3, v1
	v_add_u32_e32 v10, v10, v8
	v_mul_lo_u32 v12, s2, v1
	v_add_u32_e32 v13, v10, v9
	v_mul_hi_u32 v8, v1, v12
	v_mul_hi_u32 v11, v1, v13
	v_mul_lo_u32 v10, v1, v13
	v_mov_b32_e32 v9, v4
	v_lshl_add_u64 v[8:9], v[8:9], 0, v[10:11]
	v_mul_hi_u32 v11, v5, v12
	v_mul_lo_u32 v12, v5, v12
	v_add_co_u32_e32 v8, vcc, v8, v12
	v_mul_hi_u32 v10, v5, v13
	s_nop 0
	v_addc_co_u32_e32 v8, vcc, v9, v11, vcc
	v_mov_b32_e32 v9, v4
	s_nop 0
	v_addc_co_u32_e32 v11, vcc, 0, v10, vcc
	v_mul_lo_u32 v10, v5, v13
	v_lshl_add_u64 v[8:9], v[8:9], 0, v[10:11]
	v_add_co_u32_e32 v1, vcc, v1, v8
	v_mul_lo_u32 v10, s2, v1
	s_nop 0
	v_addc_co_u32_e32 v5, vcc, v5, v9, vcc
	v_mul_lo_u32 v8, s2, v5
	v_mul_hi_u32 v9, s2, v1
	v_add_u32_e32 v8, v9, v8
	v_mul_lo_u32 v9, s3, v1
	v_add_u32_e32 v12, v8, v9
	v_mul_hi_u32 v14, v5, v10
	v_mul_lo_u32 v15, v5, v10
	v_mul_hi_u32 v9, v1, v12
	v_mul_lo_u32 v8, v1, v12
	v_mul_hi_u32 v10, v1, v10
	v_mov_b32_e32 v11, v4
	v_lshl_add_u64 v[8:9], v[10:11], 0, v[8:9]
	v_add_co_u32_e32 v8, vcc, v8, v15
	v_mul_hi_u32 v13, v5, v12
	s_nop 0
	v_addc_co_u32_e32 v8, vcc, v9, v14, vcc
	v_mul_lo_u32 v10, v5, v12
	s_nop 0
	v_addc_co_u32_e32 v11, vcc, 0, v13, vcc
	v_mov_b32_e32 v9, v4
	v_lshl_add_u64 v[8:9], v[8:9], 0, v[10:11]
	v_add_co_u32_e32 v1, vcc, v1, v8
	v_mul_hi_u32 v10, v6, v1
	s_nop 0
	v_addc_co_u32_e32 v5, vcc, v5, v9, vcc
	v_mad_u64_u32 v[8:9], s[2:3], v6, v5, 0
	v_mov_b32_e32 v11, v4
	v_lshl_add_u64 v[8:9], v[10:11], 0, v[8:9]
	v_mad_u64_u32 v[12:13], s[2:3], v7, v1, 0
	v_add_co_u32_e32 v1, vcc, v8, v12
	v_mad_u64_u32 v[10:11], s[2:3], v7, v5, 0
	s_nop 0
	v_addc_co_u32_e32 v8, vcc, v9, v13, vcc
	v_mov_b32_e32 v9, v4
	s_nop 0
	v_addc_co_u32_e32 v11, vcc, 0, v11, vcc
	v_lshl_add_u64 v[8:9], v[8:9], 0, v[10:11]
	v_mul_lo_u32 v1, s19, v8
	v_mul_lo_u32 v5, s18, v9
	v_mad_u64_u32 v[10:11], s[2:3], s18, v8, 0
	v_add3_u32 v1, v11, v5, v1
	v_sub_u32_e32 v5, v7, v1
	v_mov_b32_e32 v11, s19
	v_sub_co_u32_e32 v14, vcc, v6, v10
	v_lshl_add_u64 v[12:13], v[8:9], 0, 1
	s_nop 0
	v_subb_co_u32_e64 v5, s[2:3], v5, v11, vcc
	v_subrev_co_u32_e64 v10, s[2:3], s18, v14
	v_subb_co_u32_e32 v1, vcc, v7, v1, vcc
	s_nop 0
	v_subbrev_co_u32_e64 v5, s[2:3], 0, v5, s[2:3]
	v_cmp_le_u32_e64 s[2:3], s19, v5
	v_cmp_le_u32_e32 vcc, s19, v1
	s_nop 0
	v_cndmask_b32_e64 v11, 0, -1, s[2:3]
	v_cmp_le_u32_e64 s[2:3], s18, v10
	s_nop 1
	v_cndmask_b32_e64 v10, 0, -1, s[2:3]
	v_cmp_eq_u32_e64 s[2:3], s19, v5
	s_nop 1
	v_cndmask_b32_e64 v5, v11, v10, s[2:3]
	v_lshl_add_u64 v[10:11], v[8:9], 0, 2
	v_cmp_ne_u32_e64 s[2:3], 0, v5
	s_nop 1
	v_cndmask_b32_e64 v5, v13, v11, s[2:3]
	v_cndmask_b32_e64 v11, 0, -1, vcc
	v_cmp_le_u32_e32 vcc, s18, v14
	s_nop 1
	v_cndmask_b32_e64 v13, 0, -1, vcc
	v_cmp_eq_u32_e32 vcc, s19, v1
	s_nop 1
	v_cndmask_b32_e32 v1, v11, v13, vcc
	v_cmp_ne_u32_e32 vcc, 0, v1
	v_cndmask_b32_e64 v1, v12, v10, s[2:3]
	s_nop 0
	v_cndmask_b32_e32 v9, v9, v5, vcc
	v_cndmask_b32_e32 v8, v8, v1, vcc
.LBB0_4:                                ;   in Loop: Header=BB0_2 Depth=1
	s_andn2_saveexec_b64 s[2:3], s[20:21]
	s_cbranch_execz .LBB0_6
; %bb.5:                                ;   in Loop: Header=BB0_2 Depth=1
	v_cvt_f32_u32_e32 v1, s18
	s_sub_i32 s20, 0, s18
	v_rcp_iflag_f32_e32 v1, v1
	s_nop 0
	v_mul_f32_e32 v1, 0x4f7ffffe, v1
	v_cvt_u32_f32_e32 v1, v1
	v_mul_lo_u32 v5, s20, v1
	v_mul_hi_u32 v5, v1, v5
	v_add_u32_e32 v1, v1, v5
	v_mul_hi_u32 v1, v6, v1
	v_mul_lo_u32 v5, v1, s18
	v_sub_u32_e32 v5, v6, v5
	v_add_u32_e32 v8, 1, v1
	v_subrev_u32_e32 v9, s18, v5
	v_cmp_le_u32_e32 vcc, s18, v5
	s_nop 1
	v_cndmask_b32_e32 v5, v5, v9, vcc
	v_cndmask_b32_e32 v1, v1, v8, vcc
	v_add_u32_e32 v8, 1, v1
	v_cmp_le_u32_e32 vcc, s18, v5
	v_mov_b32_e32 v9, v4
	s_nop 0
	v_cndmask_b32_e32 v8, v1, v8, vcc
.LBB0_6:                                ;   in Loop: Header=BB0_2 Depth=1
	s_or_b64 exec, exec, s[2:3]
	v_mad_u64_u32 v[10:11], s[2:3], v8, s18, 0
	s_load_dwordx2 s[2:3], s[12:13], 0x0
	v_mul_lo_u32 v1, v9, s18
	v_mul_lo_u32 v5, v8, s19
	v_add3_u32 v1, v11, v5, v1
	v_sub_co_u32_e32 v5, vcc, v6, v10
	s_add_u32 s14, s14, 1
	s_nop 0
	v_subb_co_u32_e32 v1, vcc, v7, v1, vcc
	s_addc_u32 s15, s15, 0
	s_waitcnt lgkmcnt(0)
	v_mul_lo_u32 v1, s2, v1
	v_mul_lo_u32 v6, s3, v5
	v_mad_u64_u32 v[2:3], s[2:3], s2, v5, v[2:3]
	s_add_u32 s12, s12, 8
	v_add3_u32 v3, v6, v3, v1
	s_addc_u32 s13, s13, 0
	v_mov_b64_e32 v[6:7], s[6:7]
	s_add_u32 s16, s16, 8
	v_cmp_ge_u64_e32 vcc, s[14:15], v[6:7]
	s_addc_u32 s17, s17, 0
	s_cbranch_vccnz .LBB0_9
; %bb.7:                                ;   in Loop: Header=BB0_2 Depth=1
	v_mov_b64_e32 v[6:7], v[8:9]
	s_branch .LBB0_2
.LBB0_8:
	v_mov_b64_e32 v[8:9], v[6:7]
.LBB0_9:
	s_lshl_b64 s[2:3], s[6:7], 3
	s_add_u32 s2, s10, s2
	s_addc_u32 s3, s11, s3
	s_load_dwordx2 s[6:7], s[2:3], 0x0
	s_load_dwordx2 s[10:11], s[0:1], 0x20
	s_mov_b32 s2, 0x226b903
	v_mov_b32_e32 v5, 0
	v_mov_b32_e32 v29, 0
	s_waitcnt lgkmcnt(0)
	v_mul_lo_u32 v1, s6, v9
	v_mul_lo_u32 v4, s7, v8
	v_mad_u64_u32 v[2:3], s[0:1], s6, v8, v[2:3]
	v_add3_u32 v3, v4, v3, v1
	v_mul_hi_u32 v1, v0, s2
	v_mul_u32_u24_e32 v1, 0x77, v1
	v_sub_u32_e32 v0, v0, v1
	s_movk_i32 s2, 0x70
	v_cmp_gt_u64_e64 s[0:1], s[10:11], v[8:9]
	v_cmp_gt_u32_e64 s[2:3], s2, v0
	s_and_b64 s[10:11], s[0:1], s[2:3]
	v_lshl_add_u64 v[2:3], v[2:3], 3, s[8:9]
                                        ; implicit-def: $vgpr32
                                        ; implicit-def: $vgpr30
                                        ; implicit-def: $vgpr40
                                        ; implicit-def: $vgpr42
                                        ; implicit-def: $vgpr38
                                        ; implicit-def: $vgpr36
                                        ; implicit-def: $vgpr34
                                        ; implicit-def: $vgpr16
                                        ; implicit-def: $vgpr14
                                        ; implicit-def: $vgpr20
                                        ; implicit-def: $vgpr22
                                        ; implicit-def: $vgpr24
                                        ; implicit-def: $vgpr26
                                        ; implicit-def: $vgpr18
                                        ; implicit-def: $vgpr12
	s_and_saveexec_b64 s[6:7], s[10:11]
	s_cbranch_execz .LBB0_11
; %bb.10:
	v_mov_b32_e32 v1, 0
	v_lshl_add_u64 v[4:5], v[0:1], 3, v[2:3]
	v_add_co_u32_e32 v8, vcc, 0x1000, v4
	v_or_b32_e32 v10, 0x380, v0
	s_nop 0
	v_addc_co_u32_e32 v9, vcc, 0, v5, vcc
	v_add_co_u32_e32 v44, vcc, 0x2000, v4
	v_mov_b32_e32 v11, v1
	s_nop 0
	v_addc_co_u32_e32 v45, vcc, 0, v5, vcc
	global_load_dwordx2 v[6:7], v[4:5], off
	global_load_dwordx2 v[32:33], v[4:5], off offset:896
	global_load_dwordx2 v[30:31], v[4:5], off offset:1792
	;; [unrolled: 1-line block ×7, first 2 shown]
	v_lshl_add_u64 v[10:11], v[10:11], 3, v[2:3]
	global_load_dwordx2 v[14:15], v[44:45], off offset:768
	global_load_dwordx2 v[20:21], v[44:45], off offset:1664
	global_load_dwordx2 v[16:17], v[10:11], off
	global_load_dwordx2 v[28:29], v[8:9], off offset:3968
	v_or_b32_e32 v8, 0x700, v0
	v_mov_b32_e32 v9, v1
	v_add_co_u32_e32 v4, vcc, 0x3000, v4
	v_lshl_add_u64 v[8:9], v[8:9], 3, v[2:3]
	s_nop 0
	v_addc_co_u32_e32 v5, vcc, 0, v5, vcc
	global_load_dwordx2 v[12:13], v[8:9], off
	global_load_dwordx2 v[22:23], v[44:45], off offset:2560
	global_load_dwordx2 v[24:25], v[44:45], off offset:3456
	;; [unrolled: 1-line block ×4, first 2 shown]
	s_waitcnt vmcnt(16)
	v_mov_b32_e32 v5, v7
	s_waitcnt vmcnt(5)
	v_mov_b32_e32 v4, v29
	v_mov_b32_e32 v29, v6
.LBB0_11:
	s_or_b64 exec, exec, s[6:7]
	s_waitcnt vmcnt(4)
	v_pk_add_f32 v[58:59], v[32:33], v[12:13]
	v_pk_add_f32 v[44:45], v[32:33], v[12:13] neg_lo:[0,1] neg_hi:[0,1]
	v_mul_f32_e32 v74, 0x3f6eb680, v58
	s_waitcnt vmcnt(0)
	v_pk_add_f32 v[6:7], v[30:31], v[18:19]
	v_fmamk_f32 v1, v45, 0xbeb8f4ab, v74
	v_pk_add_f32 v[46:47], v[30:31], v[18:19] neg_lo:[0,1] neg_hi:[0,1]
	v_mul_f32_e32 v72, 0x3f3d2fb0, v6
	v_pk_add_f32 v[60:61], v[40:41], v[26:27]
	v_add_f32_e32 v1, v29, v1
	v_fmamk_f32 v8, v47, 0xbf2c7751, v72
	v_pk_add_f32 v[48:49], v[40:41], v[26:27] neg_lo:[0,1] neg_hi:[0,1]
	v_mul_f32_e32 v73, 0x3ee437d1, v60
	v_pk_add_f32 v[62:63], v[42:43], v[24:25]
	v_add_f32_e32 v1, v8, v1
	v_fmamk_f32 v8, v49, 0xbf65296c, v73
	v_pk_add_f32 v[50:51], v[42:43], v[24:25] neg_lo:[0,1] neg_hi:[0,1]
	v_mul_f32_e32 v75, 0x3dbcf732, v62
	v_pk_add_f32 v[64:65], v[38:39], v[22:23]
	v_add_f32_e32 v1, v8, v1
	v_fmamk_f32 v8, v51, 0xbf7ee86f, v75
	v_pk_add_f32 v[52:53], v[38:39], v[22:23] neg_lo:[0,1] neg_hi:[0,1]
	v_mul_f32_e32 v76, 0xbe8c1d8e, v64
	v_pk_add_f32 v[66:67], v[36:37], v[20:21]
	v_add_f32_e32 v1, v8, v1
	v_fmamk_f32 v8, v53, 0xbf763a35, v76
	v_mul_f32_e32 v77, 0xbf1a4643, v66
	v_pk_add_f32 v[54:55], v[36:37], v[20:21] neg_lo:[0,1] neg_hi:[0,1]
	v_add_f32_e32 v1, v8, v1
	v_fmamk_f32 v8, v55, 0xbf4c4adb, v77
	v_add_f32_e32 v1, v8, v1
	v_pk_add_f32 v[8:9], v[34:35], v[14:15]
	v_pk_add_f32 v[10:11], v[34:35], v[14:15] neg_lo:[0,1] neg_hi:[0,1]
	v_mul_f32_e32 v78, 0xbf59a7d5, v8
	v_fmamk_f32 v56, v11, 0xbf06c442, v78
	v_add_f32_e32 v1, v56, v1
	v_mov_b32_e32 v56, v17
	v_pk_add_f32 v[68:69], v[16:17], v[28:29]
	v_pk_add_f32 v[56:57], v[56:57], v[4:5] op_sel_hi:[0,1] neg_lo:[0,1] neg_hi:[0,1]
	v_mul_f32_e32 v79, 0xbf7ba420, v68
	v_fmamk_f32 v70, v56, 0xbe3c28d5, v79
	s_mov_b32 s10, 0x3f3d2fb0
	s_mov_b32 s18, 0x3ee437d1
	;; [unrolled: 1-line block ×7, first 2 shown]
	v_add_f32_e32 v1, v70, v1
	s_mov_b32 s24, 0x3f6eb680
	s_mov_b32 s22, 0xbeb8f4ab
	;; [unrolled: 1-line block ×9, first 2 shown]
	s_and_saveexec_b64 s[20:21], s[2:3]
	s_cbranch_execz .LBB0_13
; %bb.12:
	s_mov_b32 s34, s12
	s_mov_b32 s35, s8
	;; [unrolled: 1-line block ×7, first 2 shown]
	v_pk_mul_f32 v[70:71], v[58:59], s[34:35] op_sel_hi:[0,1]
	s_mov_b32 s27, 0x3f65296c
	v_pk_fma_f32 v[80:81], v[44:45], s[28:29], v[70:71] op_sel:[1,0,0]
	v_pk_mul_f32 v[82:83], v[6:7], s[30:31] op_sel_hi:[0,1]
	v_pk_add_f32 v[80:81], v[28:29], v[80:81] op_sel:[1,0]
	v_pk_fma_f32 v[84:85], v[46:47], s[26:27], v[82:83] op_sel:[1,0,0]
	s_mov_b32 s25, s16
	v_pk_add_f32 v[80:81], v[84:85], v[80:81]
	s_mov_b32 s23, s17
	v_pk_mul_f32 v[84:85], v[60:61], s[24:25] op_sel_hi:[0,1]
	v_pk_fma_f32 v[86:87], v[48:49], s[22:23], v[84:85] op_sel:[1,0,0]
	s_mov_b32 s34, s8
	s_mov_b32 s35, s12
	v_pk_add_f32 v[80:81], v[86:87], v[80:81]
	s_mov_b32 s31, 0x3f4c4adb
	s_mov_b32 s30, s9
	v_pk_mul_f32 v[86:87], v[62:63], s[34:35] op_sel_hi:[0,1]
	v_pk_fma_f32 v[88:89], v[50:51], s[30:31], v[86:87] op_sel:[1,0,0]
	s_mov_b32 s36, s16
	s_mov_b32 s37, s24
	v_pk_add_f32 v[80:81], v[88:89], v[80:81]
	s_mov_b32 s34, 0x3f7ee86f
	;; [unrolled: 7-line block ×5, first 2 shown]
	s_mov_b32 s49, s15
	v_pk_mul_f32 v[94:95], v[68:69], s[36:37] op_sel_hi:[0,1]
	v_pk_fma_f32 v[96:97], v[56:57], s[48:49], v[94:95] op_sel_hi:[0,1,1]
	s_movk_i32 s25, 0x44
	v_pk_add_f32 v[80:81], v[96:97], v[80:81]
	v_mad_u32_u24 v122, v0, s25, 0
	ds_write2_b32 v122, v81, v80 offset0:10 offset1:11
	v_mul_f32_e32 v80, 0xbeb8f4ab, v45
	v_sub_f32_e32 v96, v74, v80
	v_mov_b32_e32 v74, v29
	v_pk_add_f32 v[80:81], v[74:75], v[32:33]
	v_mov_b32_e32 v74, v22
	v_pk_add_f32 v[80:81], v[80:81], v[30:31]
	s_mov_b32 s44, s10
	v_pk_add_f32 v[80:81], v[80:81], v[40:41]
	s_mov_b32 s45, s18
	;; [unrolled: 2-line block ×5, first 2 shown]
	v_pk_add_f32 v[80:81], v[80:81], v[34:35]
	v_mul_f32_e32 v34, 0xbf2c7751, v47
	v_pk_add_f32 v[80:81], v[80:81], v[16:17]
	v_sub_f32_e32 v97, v72, v34
	v_mov_b32_e32 v81, v96
	v_pk_add_f32 v[80:81], v[80:81], v[28:29]
	v_mov_b32_e32 v96, v14
	v_mul_f32_e32 v14, 0xbf65296c, v49
	v_pk_add_f32 v[80:81], v[80:81], v[96:97]
	v_sub_f32_e32 v73, v73, v14
	v_mov_b32_e32 v72, v20
	v_mul_f32_e32 v14, 0xbf7ee86f, v51
	v_pk_add_f32 v[72:73], v[80:81], v[72:73]
	v_sub_f32_e32 v75, v75, v14
	v_mul_f32_e32 v14, 0xbf763a35, v53
	v_pk_add_f32 v[72:73], v[72:73], v[74:75]
	v_sub_f32_e32 v75, v76, v14
	v_mov_b32_e32 v74, v24
	v_mul_f32_e32 v14, 0xbf4c4adb, v55
	v_pk_add_f32 v[72:73], v[72:73], v[74:75]
	v_sub_f32_e32 v75, v77, v14
	v_mov_b32_e32 v74, v26
	;; [unrolled: 4-line block ×4, first 2 shown]
	v_pk_add_f32 v[72:73], v[72:73], v[74:75]
	ds_write2_b32 v122, v72, v73 offset1:1
	s_mov_b32 s47, s12
	v_pk_mul_f32 v[72:73], v[58:59], s[44:45] op_sel_hi:[0,1]
	s_mov_b32 s38, s17
	s_mov_b32 s39, s13
	v_pk_fma_f32 v[74:75], v[44:45], s[36:37], v[72:73] op_sel:[1,0,0] neg_lo:[1,0,0] neg_hi:[1,0,0]
	v_pk_mul_f32 v[76:77], v[6:7], s[46:47] op_sel_hi:[0,1]
	v_pk_add_f32 v[74:75], v[28:29], v[74:75] op_sel:[1,0]
	v_pk_fma_f32 v[78:79], v[46:47], s[38:39], v[76:77] op_sel:[1,0,0] neg_lo:[1,0,0] neg_hi:[1,0,0]
	s_mov_b32 s46, s12
	s_mov_b32 s47, s6
	v_pk_add_f32 v[74:75], v[78:79], v[74:75]
	s_mov_b32 s45, 0x3e3c28d5
	s_mov_b32 s44, s13
	v_pk_mul_f32 v[78:79], v[60:61], s[46:47] op_sel_hi:[0,1]
	v_pk_fma_f32 v[80:81], v[48:49], s[44:45], v[78:79] op_sel:[1,0,0] neg_lo:[1,0,0] neg_hi:[1,0,0]
	s_mov_b32 s50, s6
	s_mov_b32 s51, s14
	v_pk_add_f32 v[74:75], v[80:81], v[74:75]
	s_mov_b32 s46, s7
	s_mov_b32 s47, s26
	v_pk_mul_f32 v[80:81], v[62:63], s[50:51] op_sel_hi:[0,1]
	v_pk_fma_f32 v[96:97], v[50:51], s[46:47], v[80:81] op_sel:[1,0,0] neg_lo:[1,0,0] neg_hi:[1,0,0]
	s_mov_b32 s59, 0x3f06c442
	s_mov_b32 s52, s8
	;; [unrolled: 1-line block ×3, first 2 shown]
	v_pk_add_f32 v[74:75], v[96:97], v[74:75]
	s_mov_b32 s50, s59
	s_mov_b32 s51, s43
	v_pk_mul_f32 v[96:97], v[64:65], s[52:53] op_sel_hi:[0,1]
	v_pk_fma_f32 v[98:99], v[52:53], s[50:51], v[96:97] op_sel:[1,0,0] neg_lo:[1,0,0] neg_hi:[1,0,0]
	s_mov_b32 s54, s14
	s_mov_b32 s55, s24
	v_pk_fma_f32 v[70:71], v[44:45], s[28:29], v[70:71] op_sel:[1,0,0] neg_lo:[1,0,0] neg_hi:[1,0,0]
	v_pk_add_f32 v[74:75], v[98:99], v[74:75]
	s_mov_b32 s52, s26
	s_mov_b32 s53, s22
	v_pk_mul_f32 v[98:99], v[66:67], s[54:55] op_sel_hi:[0,1]
	v_pk_add_f32 v[70:71], v[28:29], v[70:71] op_sel:[1,0]
	v_pk_fma_f32 v[82:83], v[46:47], s[26:27], v[82:83] op_sel:[1,0,0] neg_lo:[1,0,0] neg_hi:[1,0,0]
	v_pk_fma_f32 v[100:101], v[54:55], s[52:53], v[98:99] op_sel:[1,0,0] neg_lo:[1,0,0] neg_hi:[1,0,0]
	s_mov_b32 s56, s18
	s_mov_b32 s57, s16
	v_pk_add_f32 v[70:71], v[82:83], v[70:71]
	v_pk_fma_f32 v[82:83], v[48:49], s[22:23], v[84:85] op_sel:[1,0,0] neg_lo:[1,0,0] neg_hi:[1,0,0]
	v_pk_add_f32 v[74:75], v[100:101], v[74:75]
	s_mov_b32 s54, s27
	s_mov_b32 s55, s17
	v_pk_mul_f32 v[100:101], v[8:9], s[56:57] op_sel_hi:[0,1]
	v_pk_add_f32 v[70:71], v[82:83], v[70:71]
	v_pk_fma_f32 v[82:83], v[50:51], s[30:31], v[86:87] op_sel:[1,0,0] neg_lo:[1,0,0] neg_hi:[1,0,0]
	v_pk_fma_f32 v[102:103], v[10:11], s[54:55], v[100:101] op_sel:[1,0,0] neg_lo:[1,0,0] neg_hi:[1,0,0]
	s_mov_b32 s25, s18
	v_pk_add_f32 v[70:71], v[82:83], v[70:71]
	v_pk_fma_f32 v[82:83], v[52:53], s[34:35], v[88:89] op_sel:[1,0,0] neg_lo:[1,0,0] neg_hi:[1,0,0]
	v_pk_add_f32 v[74:75], v[102:103], v[74:75]
	s_mov_b32 s60, 0x3eb8f4ab
	v_pk_mul_f32 v[102:103], v[62:63], s[24:25] op_sel_hi:[0,1]
	s_mov_b32 s25, s8
	v_pk_add_f32 v[70:71], v[82:83], v[70:71]
	v_pk_fma_f32 v[82:83], v[54:55], s[40:41], v[90:91] op_sel:[1,0,0] neg_lo:[1,0,0] neg_hi:[1,0,0]
	s_mov_b32 s56, s60
	s_mov_b32 s57, s9
	v_pk_mul_f32 v[104:105], v[68:69], s[24:25] op_sel_hi:[0,1]
	v_pk_add_f32 v[70:71], v[82:83], v[70:71]
	v_pk_fma_f32 v[82:83], v[10:11], s[42:43], v[92:93] op_sel:[1,0,0] neg_lo:[1,0,0] neg_hi:[1,0,0]
	v_pk_fma_f32 v[106:107], v[56:57], s[56:57], v[104:105] op_sel_hi:[0,1,1] neg_lo:[1,0,0] neg_hi:[1,0,0]
	v_pk_add_f32 v[70:71], v[82:83], v[70:71]
	v_pk_fma_f32 v[82:83], v[56:57], s[48:49], v[94:95] op_sel_hi:[0,1,1] neg_lo:[1,0,0] neg_hi:[1,0,0]
	v_pk_add_f32 v[74:75], v[106:107], v[74:75]
	s_mov_b32 s64, s16
	s_mov_b32 s65, s14
	v_pk_add_f32 v[70:71], v[82:83], v[70:71]
	v_mul_f32_e32 v14, 0xbf7ba420, v58
	v_mul_f32_e32 v34, 0xbe3c28d5, v45
	ds_write2_b32 v122, v74, v75 offset0:2 offset1:3
	s_mov_b32 s62, s17
	s_mov_b32 s63, s15
	;; [unrolled: 1-line block ×4, first 2 shown]
	v_pk_mul_f32 v[74:75], v[58:59], s[64:65] op_sel_hi:[0,1]
	ds_write2_b32 v122, v70, v71 offset0:6 offset1:7
	v_pk_add_f32 v[58:59], v[14:15], v[34:35] neg_lo:[0,1] neg_hi:[0,1]
	v_pk_add_f32 v[70:71], v[14:15], v[34:35]
	v_mul_f32_e32 v14, 0x3f6eb680, v6
	v_mul_f32_e32 v34, 0x3eb8f4ab, v47
	s_mov_b32 s58, s7
	v_pk_fma_f32 v[106:107], v[44:45], s[62:63], v[74:75] op_sel:[1,0,0] neg_lo:[1,0,0] neg_hi:[1,0,0]
	v_pk_mul_f32 v[108:109], v[6:7], s[66:67] op_sel_hi:[0,1]
	v_mov_b32_e32 v59, v70
	v_pk_add_f32 v[70:71], v[14:15], v[34:35] neg_lo:[0,1] neg_hi:[0,1]
	v_pk_add_f32 v[82:83], v[14:15], v[34:35]
	v_pk_add_f32 v[106:107], v[28:29], v[106:107] op_sel:[1,0]
	v_pk_fma_f32 v[110:111], v[46:47], s[58:59], v[108:109] op_sel:[1,0,0] neg_lo:[1,0,0] neg_hi:[1,0,0]
	s_mov_b32 s66, s14
	s_mov_b32 s67, s10
	v_mov_b32_e32 v71, v82
	v_pk_add_f32 v[58:59], v[28:29], v[58:59] op_sel:[1,0]
	v_mul_f32_e32 v14, 0xbf59a7d5, v60
	v_mul_f32_e32 v34, 0xbf06c442, v49
	v_pk_add_f32 v[106:107], v[110:111], v[106:107]
	v_pk_mul_f32 v[110:111], v[60:61], s[66:67] op_sel_hi:[0,1]
	v_pk_add_f32 v[58:59], v[70:71], v[58:59]
	v_pk_add_f32 v[60:61], v[14:15], v[34:35] neg_lo:[0,1] neg_hi:[0,1]
	v_pk_add_f32 v[70:71], v[14:15], v[34:35]
	v_mul_f32_e32 v14, 0x3f3d2fb0, v62
	v_mov_b32_e32 v61, v70
	v_mul_f32_e32 v34, 0x3f2c7751, v51
	v_pk_add_f32 v[58:59], v[60:61], v[58:59]
	v_pk_add_f32 v[60:61], v[14:15], v[34:35] neg_lo:[0,1] neg_hi:[0,1]
	v_pk_add_f32 v[62:63], v[14:15], v[34:35]
	v_mul_f32_e32 v14, 0xbf1a4643, v64
	v_mov_b32_e32 v61, v62
	v_mul_f32_e32 v34, 0xbf4c4adb, v53
	;; [unrolled: 6-line block ×5, first 2 shown]
	s_mov_b32 s64, s26
	s_mov_b32 s65, s43
	v_pk_add_f32 v[58:59], v[60:61], v[58:59]
	v_pk_add_f32 v[60:61], v[14:15], v[34:35] neg_lo:[0,1] neg_hi:[0,1]
	v_pk_add_f32 v[62:63], v[14:15], v[34:35]
	v_pk_fma_f32 v[112:113], v[48:49], s[64:65], v[110:111] op_sel:[1,0,0] neg_lo:[1,0,0] neg_hi:[1,0,0]
	s_mov_b32 s61, s19
	v_mov_b32_e32 v61, v62
	v_pk_add_f32 v[106:107], v[112:113], v[106:107]
	v_pk_fma_f32 v[112:113], v[50:51], s[60:61], v[102:103] op_sel:[1,0,0] neg_lo:[1,0,0] neg_hi:[1,0,0]
	s_mov_b32 s68, s18
	s_mov_b32 s69, s6
	v_pk_add_f32 v[58:59], v[60:61], v[58:59]
	v_pk_add_f32 v[106:107], v[112:113], v[106:107]
	s_mov_b32 s66, s19
	s_mov_b32 s67, s7
	v_pk_mul_f32 v[112:113], v[64:65], s[68:69] op_sel_hi:[0,1]
	ds_write2_b32 v122, v58, v59 offset0:8 offset1:9
	v_pk_fma_f32 v[58:59], v[44:45], s[62:63], v[74:75] op_sel:[1,0,0]
	v_pk_fma_f32 v[44:45], v[44:45], s[36:37], v[72:73] op_sel:[1,0,0]
	v_pk_fma_f32 v[114:115], v[52:53], s[66:67], v[112:113] op_sel:[1,0,0] neg_lo:[1,0,0] neg_hi:[1,0,0]
	s_mov_b32 s68, s8
	s_mov_b32 s69, s16
	v_pk_add_f32 v[58:59], v[28:29], v[58:59] op_sel:[1,0]
	v_pk_fma_f32 v[60:61], v[46:47], s[58:59], v[108:109] op_sel:[1,0,0]
	v_pk_add_f32 v[44:45], v[28:29], v[44:45] op_sel:[1,0]
	v_pk_fma_f32 v[46:47], v[46:47], s[38:39], v[76:77] op_sel:[1,0,0]
	v_pk_add_f32 v[106:107], v[114:115], v[106:107]
	s_mov_b32 s70, s9
	s_mov_b32 s71, s34
	v_pk_mul_f32 v[114:115], v[66:67], s[68:69] op_sel_hi:[0,1]
	v_pk_add_f32 v[58:59], v[60:61], v[58:59]
	v_pk_fma_f32 v[60:61], v[48:49], s[64:65], v[110:111] op_sel:[1,0,0]
	v_pk_add_f32 v[44:45], v[46:47], v[44:45]
	v_pk_fma_f32 v[46:47], v[48:49], s[44:45], v[78:79] op_sel:[1,0,0]
	v_pk_fma_f32 v[116:117], v[54:55], s[70:71], v[114:115] op_sel:[1,0,0] neg_lo:[1,0,0] neg_hi:[1,0,0]
	s_mov_b32 s68, s12
	s_mov_b32 s69, s24
	v_pk_add_f32 v[58:59], v[60:61], v[58:59]
	v_pk_fma_f32 v[60:61], v[50:51], s[60:61], v[102:103] op_sel:[1,0,0]
	v_pk_add_f32 v[44:45], v[46:47], v[44:45]
	v_pk_fma_f32 v[46:47], v[50:51], s[46:47], v[80:81] op_sel:[1,0,0]
	v_pk_add_f32 v[106:107], v[116:117], v[106:107]
	s_mov_b32 s24, s31
	s_mov_b32 s25, s22
	v_pk_mul_f32 v[116:117], v[8:9], s[68:69] op_sel_hi:[0,1]
	v_pk_add_f32 v[58:59], v[60:61], v[58:59]
	v_pk_fma_f32 v[60:61], v[52:53], s[66:67], v[112:113] op_sel:[1,0,0]
	v_pk_add_f32 v[44:45], v[46:47], v[44:45]
	v_pk_fma_f32 v[46:47], v[52:53], s[50:51], v[96:97] op_sel:[1,0,0]
	v_pk_fma_f32 v[118:119], v[10:11], s[24:25], v[116:117] op_sel:[1,0,0] neg_lo:[1,0,0] neg_hi:[1,0,0]
	s_mov_b32 s68, s10
	s_mov_b32 s69, s12
	v_pk_add_f32 v[58:59], v[60:61], v[58:59]
	v_pk_fma_f32 v[60:61], v[54:55], s[70:71], v[114:115] op_sel:[1,0,0]
	v_pk_add_f32 v[44:45], v[46:47], v[44:45]
	v_pk_fma_f32 v[46:47], v[54:55], s[52:53], v[98:99] op_sel:[1,0,0]
	v_pk_add_f32 v[106:107], v[118:119], v[106:107]
	s_mov_b32 s72, s43
	s_mov_b32 s73, s13
	v_pk_mul_f32 v[118:119], v[68:69], s[68:69] op_sel_hi:[0,1]
	v_pk_add_f32 v[58:59], v[60:61], v[58:59]
	v_pk_fma_f32 v[60:61], v[10:11], s[24:25], v[116:117] op_sel:[1,0,0]
	v_pk_add_f32 v[44:45], v[46:47], v[44:45]
	v_pk_fma_f32 v[46:47], v[10:11], s[54:55], v[100:101] op_sel:[1,0,0]
	v_pk_fma_f32 v[120:121], v[56:57], s[72:73], v[118:119] op_sel_hi:[0,1,1] neg_lo:[1,0,0] neg_hi:[1,0,0]
	v_pk_add_f32 v[58:59], v[60:61], v[58:59]
	v_pk_fma_f32 v[60:61], v[56:57], s[72:73], v[118:119] op_sel_hi:[0,1,1]
	v_pk_add_f32 v[44:45], v[46:47], v[44:45]
	v_pk_fma_f32 v[46:47], v[56:57], s[56:57], v[104:105] op_sel_hi:[0,1,1]
	v_pk_add_f32 v[106:107], v[120:121], v[106:107]
	v_pk_add_f32 v[58:59], v[60:61], v[58:59]
	;; [unrolled: 1-line block ×3, first 2 shown]
	ds_write2_b32 v122, v106, v107 offset0:4 offset1:5
	ds_write2_b32 v122, v59, v58 offset0:12 offset1:13
	v_mov_b32_e32 v14, v45
	v_mov_b32_e32 v29, v44
	ds_write2_b32 v122, v45, v44 offset0:14 offset1:15
	ds_write_b32 v122, v1 offset:64
.LBB0_13:
	s_or_b64 exec, exec, s[20:21]
	v_pk_add_f32 v[44:45], v[4:5], v[32:33]
	v_mov_b32_e32 v46, v25
	v_pk_add_f32 v[44:45], v[44:45], v[30:31]
	v_mov_b32_e32 v47, v27
	;; [unrolled: 2-line block ×5, first 2 shown]
	v_mov_b32_e32 v45, v41
	v_mov_b32_e32 v43, v40
	;; [unrolled: 1-line block ×4, first 2 shown]
	v_pk_add_f32 v[44:45], v[44:45], v[46:47]
	v_pk_add_f32 v[42:43], v[42:43], v[40:41] neg_lo:[0,1] neg_hi:[0,1]
	v_mov_b32_e32 v40, v45
	v_mov_b32_e32 v41, v43
	v_pk_mul_f32 v[62:63], v[40:41], s[18:19]
	v_mov_b32_e32 v40, v44
	v_mov_b32_e32 v41, v42
	v_pk_mul_f32 v[60:61], v[40:41], s[16:17]
	v_mov_b32_e32 v40, v37
	v_mov_b32_e32 v41, v39
	;; [unrolled: 1-line block ×4, first 2 shown]
	v_pk_add_f32 v[40:41], v[40:41], v[46:47]
	v_mov_b32_e32 v46, v36
	v_mov_b32_e32 v47, v38
	;; [unrolled: 1-line block ×4, first 2 shown]
	v_pk_add_f32 v[46:47], v[46:47], v[38:39] neg_lo:[0,1] neg_hi:[0,1]
	v_mov_b32_e32 v38, v41
	v_mov_b32_e32 v39, v47
	v_pk_mul_f32 v[68:69], v[38:39], s[14:15]
	v_mov_b32_e32 v38, v40
	v_mov_b32_e32 v39, v46
	v_pk_mul_f32 v[64:65], v[38:39], s[12:13]
	v_mov_b32_e32 v38, v49
	v_mov_b32_e32 v39, v13
	;; [unrolled: 1-line block ×5, first 2 shown]
	v_pk_add_f32 v[38:39], v[38:39], v[36:37]
	v_mov_b32_e32 v67, 0x3f6eb680
	v_mov_b32_e32 v66, v35
	v_pk_add_f32 v[52:53], v[30:31], v[32:33] neg_lo:[0,1] neg_hi:[0,1]
	v_pk_mul_f32 v[70:71], v[38:39], v[66:67]
	v_mov_b32_e32 v30, v7
	v_mov_b32_e32 v31, v52
	v_pk_mul_f32 v[72:73], v[30:31], s[10:11]
	v_fmamk_f32 v18, v53, 0x3eb8f4ab, v71
	v_sub_f32_e32 v12, v72, v73
	v_add_f32_e32 v18, v5, v18
	v_sub_f32_e32 v14, v62, v63
	v_add_f32_e32 v12, v12, v18
	;; [unrolled: 2-line block ×4, first 2 shown]
	v_mov_b32_e32 v54, v9
	v_mov_b32_e32 v55, v10
	v_sub_f32_e32 v22, v64, v65
	v_add_f32_e32 v12, v20, v12
	v_pk_mul_f32 v[58:59], v[54:55], s[8:9]
	v_mov_b32_e32 v29, v4
	v_add_f32_e32 v12, v22, v12
	v_sub_f32_e32 v14, v58, v59
	v_pk_add_f32 v[48:49], v[16:17], v[28:29]
	v_pk_add_f32 v[50:51], v[16:17], v[28:29] neg_lo:[0,1] neg_hi:[0,1]
	v_lshl_add_u32 v70, v0, 2, 0
	v_add_u32_e32 v74, 0xee, v0
	v_add_f32_e32 v14, v14, v12
	v_mov_b32_e32 v28, v49
	v_mov_b32_e32 v29, v50
	v_add_u32_e32 v12, 0xe00, v70
	v_add_u32_e32 v76, 0x165, v0
	v_lshl_add_u32 v75, v74, 2, 0
	v_add_u32_e32 v16, 0x1200, v70
	v_add_u32_e32 v85, 0x253, v0
	;; [unrolled: 1-line block ×7, first 2 shown]
	v_pk_mul_f32 v[56:57], v[28:29], s[6:7]
	s_waitcnt lgkmcnt(0)
	s_barrier
	ds_read2_b32 v[28:29], v70 offset1:119
	ds_read2_b32 v[30:31], v12 offset0:56 offset1:175
	ds_read2_b32 v[32:33], v16 offset0:38 offset1:157
	v_lshl_add_u32 v77, v76, 2, 0
	v_lshl_add_u32 v78, v87, 2, 0
	ds_read2_b32 v[34:35], v82 offset0:20 offset1:139
	v_lshl_add_u32 v18, v85, 2, 0
	v_lshl_add_u32 v81, v86, 2, 0
	ds_read2_b32 v[36:37], v80 offset0:130 offset1:249
	v_lshl_add_u32 v83, v84, 2, 0
	ds_read_b32 v89, v75
	ds_read_b32 v88, v77
	;; [unrolled: 1-line block ×6, first 2 shown]
	v_sub_f32_e32 v79, v56, v57
	s_mov_b32 s10, 0x3eb8f4ab
	v_add_f32_e32 v79, v79, v14
	s_waitcnt lgkmcnt(0)
	s_barrier
	s_and_saveexec_b64 s[6:7], s[2:3]
	s_cbranch_execz .LBB0_15
; %bb.14:
	v_mov_b32_e32 v93, v62
	v_pk_add_f32 v[62:63], v[92:93], v[62:63]
	v_pk_add_f32 v[66:67], v[38:39], v[66:67]
	v_mul_f32_e32 v91, 0xbeb8f4ab, v53
	v_mov_b32_e32 v67, v71
	v_mov_b32_e32 v62, v21
	;; [unrolled: 1-line block ×4, first 2 shown]
	v_pk_add_f32 v[72:73], v[20:21], v[72:73]
	v_pk_add_f32 v[66:67], v[66:67], v[90:91]
	v_mov_b32_e32 v95, v60
	v_pk_add_f32 v[66:67], v[66:67], v[4:5]
	v_mov_b32_e32 v72, v15
	;; [unrolled: 2-line block ×3, first 2 shown]
	v_pk_add_f32 v[14:15], v[66:67], v[72:73]
	v_pk_add_f32 v[68:69], v[96:97], v[68:69]
	v_mov_b32_e32 v99, v64
	v_mov_b32_e32 v60, v23
	v_pk_add_f32 v[14:15], v[14:15], v[62:63]
	v_pk_add_f32 v[64:65], v[98:99], v[64:65]
	v_mov_b32_e32 v68, v25
	s_mov_b32 s11, 0xbe3c28d5
	v_pk_add_f32 v[14:15], v[14:15], v[60:61]
	v_mov_b32_e32 v64, v27
	v_pk_mul_f32 v[100:101], v[52:53], s[10:11]
	v_mov_b32_e32 v102, v7
	v_mov_b32_e32 v103, v39
	s_mov_b32 s17, 0xbf7ba420
	s_mov_b32 s16, 0x3f6eb680
	v_pk_add_f32 v[14:15], v[14:15], v[68:69]
	s_mov_b32 s8, 0x3f2c7751
	v_pk_add_f32 v[60:61], v[14:15], v[64:65]
	v_pk_fma_f32 v[14:15], v[102:103], s[16:17], v[100:101]
	s_mov_b32 s12, 0x3f3d2fb0
	s_mov_b32 s9, 0xbf06c442
	v_pk_add_f32 v[62:63], v[4:5], v[14:15]
	v_pk_fma_f32 v[64:65], v[102:103], s[16:17], v[100:101] neg_lo:[0,0,1] neg_hi:[0,0,1]
	s_mov_b32 s13, 0xbf59a7d5
	v_pk_mul_f32 v[92:93], v[42:43], s[8:9]
	v_pk_add_f32 v[66:67], v[4:5], v[64:65]
	v_mov_b32_e32 v62, v63
	v_pk_fma_f32 v[94:95], v[44:45], s[12:13], v[92:93]
	s_mov_b32 s15, 0xbf4c4adb
	s_mov_b32 s14, 0x3f65296c
	v_pk_add_f32 v[14:15], v[14:15], v[62:63]
	v_mov_b32_e32 v62, v67
	v_pk_fma_f32 v[92:93], v[44:45], s[12:13], v[92:93] neg_lo:[0,0,1] neg_hi:[0,0,1]
	s_mov_b32 s3, 0xbf1a4643
	s_mov_b32 s2, 0x3ee437d1
	v_pk_mul_f32 v[96:97], v[46:47], s[14:15]
	v_pk_add_f32 v[62:63], v[64:65], v[62:63]
	v_mov_b32_e32 v64, v95
	v_mov_b32_e32 v17, v58
	v_pk_fma_f32 v[98:99], v[40:41], s[2:3], v[96:97]
	v_pk_add_f32 v[14:15], v[64:65], v[14:15]
	v_mov_b32_e32 v64, v93
	v_pk_add_f32 v[58:59], v[16:17], v[58:59]
	s_mov_b32 s18, 0xbe8c1d8e
	v_pk_fma_f32 v[96:97], v[40:41], s[2:3], v[96:97] neg_lo:[0,0,1] neg_hi:[0,0,1]
	v_pk_add_f32 v[62:63], v[64:65], v[62:63]
	v_pk_add_f32 v[14:15], v[94:95], v[14:15]
	v_mov_b32_e32 v64, v99
	v_mov_b32_e32 v58, v19
	s_mov_b32 s19, 0xbf763a35
	v_pk_add_f32 v[62:63], v[92:93], v[62:63]
	v_pk_add_f32 v[14:15], v[64:65], v[14:15]
	v_mov_b32_e32 v64, v97
	v_pk_add_f32 v[58:59], v[60:61], v[58:59]
	v_pk_mul_f32 v[60:61], v[54:55], s[18:19]
	v_pk_add_f32 v[62:63], v[64:65], v[62:63]
	v_mov_b32_e32 v64, v61
	v_mov_b32_e32 v17, v60
	v_pk_fma_f32 v[64:65], v[54:55], s[18:19], v[64:65]
	v_pk_fma_f32 v[54:55], v[54:55], s[18:19], v[16:17] neg_lo:[1,0,0] neg_hi:[1,0,0]
	v_mov_b32_e32 v17, v56
	v_pk_add_f32 v[56:57], v[16:17], v[56:57]
	s_mov_b32 s23, 0xbf65296c
	v_mov_b32_e32 v56, v13
	s_mov_b32 s22, 0xbf2c7751
	v_pk_add_f32 v[56:57], v[58:59], v[56:57]
	v_pk_mul_f32 v[58:59], v[52:53], s[22:23] op_sel:[1,0]
	s_mov_b32 s24, 0xbf7ee86f
	s_mov_b32 s25, s15
	;; [unrolled: 1-line block ×6, first 2 shown]
	v_pk_mul_f32 v[60:61], v[52:53], s[24:25] op_sel_hi:[0,1]
	s_mov_b32 s27, 0x3e3c28d5
	s_mov_b32 s26, s15
	v_pk_fma_f32 v[102:103], v[38:39], s[42:43], v[58:59] op_sel:[1,0,0]
	v_pk_fma_f32 v[66:67], v[6:7], s[20:21], v[60:61] op_sel:[1,0,0]
	s_mov_b32 s30, s3
	s_mov_b32 s31, s17
	v_pk_mul_f32 v[68:69], v[42:43], s[26:27] op_sel:[1,0]
	s_mov_b32 s29, 0x3f763a35
	s_mov_b32 s28, s11
	v_pk_add_f32 v[102:103], v[4:5], v[102:103] op_sel:[1,0]
	v_pk_fma_f32 v[72:73], v[44:45], s[30:31], v[68:69] op_sel:[1,0,0]
	s_mov_b32 s34, s17
	s_mov_b32 s35, s18
	v_pk_mul_f32 v[90:91], v[42:43], s[28:29] op_sel_hi:[0,1]
	s_mov_b32 s38, 0x3f06c442
	s_mov_b32 s39, s8
	v_pk_add_f32 v[66:67], v[66:67], v[102:103]
	v_pk_fma_f32 v[92:93], v[44:45], s[34:35], v[90:91] op_sel_hi:[0,1,1]
	s_mov_b32 s36, s13
	s_mov_b32 s37, s12
	v_pk_mul_f32 v[94:95], v[46:47], s[38:39] op_sel:[1,0]
	s_mov_b32 s27, 0xbeb8f4ab
	s_mov_b32 s26, s29
	v_pk_add_f32 v[66:67], v[72:73], v[66:67]
	v_pk_add_f32 v[14:15], v[98:99], v[14:15]
	v_pk_add_f32 v[62:63], v[96:97], v[62:63]
	v_pk_fma_f32 v[96:97], v[40:41], s[36:37], v[94:95] op_sel:[1,0,0]
	s_mov_b32 s40, s18
	s_mov_b32 s41, s16
	v_pk_mul_f32 v[98:99], v[46:47], s[26:27] op_sel_hi:[0,1]
	v_pk_add_f32 v[66:67], v[92:93], v[66:67]
	s_mov_b32 s46, s14
	s_mov_b32 s47, s24
	v_pk_fma_f32 v[58:59], v[38:39], s[42:43], v[58:59] op_sel:[1,0,0] neg_lo:[0,0,1] neg_hi:[0,0,1]
	v_pk_fma_f32 v[100:101], v[40:41], s[40:41], v[98:99] op_sel_hi:[0,1,1]
	v_pk_add_f32 v[66:67], v[96:97], v[66:67]
	s_mov_b32 s44, s2
	s_mov_b32 s45, s20
	v_pk_mul_f32 v[72:73], v[10:11], s[46:47] op_sel_hi:[0,1]
	v_pk_fma_f32 v[60:61], v[6:7], s[20:21], v[60:61] op_sel:[1,0,0] neg_lo:[0,0,1] neg_hi:[0,0,1]
	v_pk_add_f32 v[58:59], v[4:5], v[58:59] op_sel:[1,0]
	v_pk_add_f32 v[66:67], v[100:101], v[66:67]
	v_pk_fma_f32 v[92:93], v[8:9], s[44:45], v[72:73] op_sel:[1,0,0]
	s_mov_b32 s48, s10
	s_mov_b32 s49, s9
	v_pk_fma_f32 v[68:69], v[44:45], s[30:31], v[68:69] op_sel:[1,0,0] neg_lo:[0,0,1] neg_hi:[0,0,1]
	v_pk_add_f32 v[58:59], v[60:61], v[58:59]
	v_pk_add_f32 v[66:67], v[92:93], v[66:67]
	s_mov_b32 s46, s16
	s_mov_b32 s47, s13
	v_pk_mul_f32 v[92:93], v[50:51], s[48:49] op_sel_hi:[0,1]
	v_pk_fma_f32 v[90:91], v[44:45], s[34:35], v[90:91] op_sel_hi:[0,1,1] neg_lo:[0,0,1] neg_hi:[0,0,1]
	v_pk_add_f32 v[58:59], v[68:69], v[58:59]
	v_pk_fma_f32 v[96:97], v[48:49], s[46:47], v[92:93] op_sel:[1,0,0]
	v_pk_fma_f32 v[94:95], v[40:41], s[36:37], v[94:95] op_sel:[1,0,0] neg_lo:[0,0,1] neg_hi:[0,0,1]
	v_pk_add_f32 v[58:59], v[90:91], v[58:59]
	v_pk_add_f32 v[66:67], v[96:97], v[66:67]
	v_pk_fma_f32 v[96:97], v[40:41], s[40:41], v[98:99] op_sel_hi:[0,1,1] neg_lo:[0,0,1] neg_hi:[0,0,1]
	v_pk_add_f32 v[58:59], v[94:95], v[58:59]
	v_pk_fma_f32 v[60:61], v[8:9], s[44:45], v[72:73] op_sel:[1,0,0] neg_lo:[0,0,1] neg_hi:[0,0,1]
	v_pk_add_f32 v[58:59], v[96:97], v[58:59]
	s_mov_b32 s25, s19
	v_pk_add_f32 v[58:59], v[60:61], v[58:59]
	v_pk_fma_f32 v[60:61], v[48:49], s[46:47], v[92:93] op_sel:[1,0,0] neg_lo:[0,0,1] neg_hi:[0,0,1]
	s_mov_b32 s34, s11
	v_pk_add_f32 v[58:59], v[60:61], v[58:59]
	v_pk_mul_f32 v[60:61], v[52:53], s[24:25] op_sel:[1,0]
	s_mov_b32 s35, s38
	s_mov_b32 s21, s18
	;; [unrolled: 1-line block ×4, first 2 shown]
	v_pk_mul_f32 v[68:69], v[52:53], s[34:35] op_sel_hi:[0,1]
	s_mov_b32 s36, s29
	s_mov_b32 s37, s8
	v_pk_fma_f32 v[106:107], v[38:39], s[20:21], v[60:61] op_sel:[1,0,0]
	v_pk_fma_f32 v[72:73], v[6:7], s[30:31], v[68:69] op_sel:[1,0,0]
	s_mov_b32 s34, s18
	s_mov_b32 s35, s12
	v_pk_mul_f32 v[90:91], v[42:43], s[36:37] op_sel:[1,0]
	s_mov_b32 s38, s10
	s_mov_b32 s39, s23
	v_pk_add_f32 v[106:107], v[4:5], v[106:107] op_sel:[1,0]
	v_pk_fma_f32 v[92:93], v[44:45], s[34:35], v[90:91] op_sel:[1,0,0]
	s_mov_b32 s36, s16
	s_mov_b32 s37, s2
	v_pk_mul_f32 v[94:95], v[42:43], s[38:39] op_sel_hi:[0,1]
	s_mov_b32 s10, s23
	v_pk_add_f32 v[72:73], v[72:73], v[106:107]
	v_pk_fma_f32 v[96:97], v[44:45], s[36:37], v[94:95] op_sel_hi:[0,1,1]
	s_mov_b32 s38, s2
	s_mov_b32 s39, s17
	v_pk_mul_f32 v[98:99], v[46:47], s[10:11] op_sel:[1,0]
	s_mov_b32 s43, 0x3f7ee86f
	s_mov_b32 s42, s9
	v_pk_add_f32 v[72:73], v[92:93], v[72:73]
	v_pk_fma_f32 v[100:101], v[40:41], s[38:39], v[98:99] op_sel:[1,0,0]
	s_mov_b32 s40, s13
	s_mov_b32 s41, s20
	v_pk_mul_f32 v[102:103], v[46:47], s[42:43] op_sel_hi:[0,1]
	v_pk_add_f32 v[72:73], v[96:97], v[72:73]
	s_mov_b32 s26, 0x3f4c4adb
	v_pk_fma_f32 v[60:61], v[38:39], s[20:21], v[60:61] op_sel:[1,0,0] neg_lo:[0,0,1] neg_hi:[0,0,1]
	v_pk_fma_f32 v[104:105], v[40:41], s[40:41], v[102:103] op_sel_hi:[0,1,1]
	v_pk_add_f32 v[72:73], v[100:101], v[72:73]
	s_mov_b32 s44, s3
	s_mov_b32 s45, s16
	v_pk_mul_f32 v[92:93], v[10:11], s[26:27] op_sel_hi:[0,1]
	v_pk_fma_f32 v[68:69], v[6:7], s[30:31], v[68:69] op_sel:[1,0,0] neg_lo:[0,0,1] neg_hi:[0,0,1]
	v_pk_add_f32 v[60:61], v[4:5], v[60:61] op_sel:[1,0]
	v_pk_add_f32 v[72:73], v[104:105], v[72:73]
	v_pk_fma_f32 v[96:97], v[8:9], s[44:45], v[92:93] op_sel:[1,0,0]
	s_mov_b32 s48, s8
	s_mov_b32 s49, s15
	v_pk_fma_f32 v[90:91], v[44:45], s[34:35], v[90:91] op_sel:[1,0,0] neg_lo:[0,0,1] neg_hi:[0,0,1]
	v_pk_add_f32 v[60:61], v[68:69], v[60:61]
	v_pk_add_f32 v[72:73], v[96:97], v[72:73]
	s_mov_b32 s46, s12
	s_mov_b32 s47, s3
	v_pk_mul_f32 v[96:97], v[50:51], s[48:49] op_sel_hi:[0,1]
	v_pk_fma_f32 v[94:95], v[44:45], s[36:37], v[94:95] op_sel_hi:[0,1,1] neg_lo:[0,0,1] neg_hi:[0,0,1]
	v_pk_add_f32 v[60:61], v[90:91], v[60:61]
	v_pk_fma_f32 v[100:101], v[48:49], s[46:47], v[96:97] op_sel:[1,0,0]
	v_pk_fma_f32 v[98:99], v[40:41], s[38:39], v[98:99] op_sel:[1,0,0] neg_lo:[0,0,1] neg_hi:[0,0,1]
	v_pk_add_f32 v[60:61], v[94:95], v[60:61]
	v_pk_add_f32 v[72:73], v[100:101], v[72:73]
	v_pk_fma_f32 v[100:101], v[40:41], s[40:41], v[102:103] op_sel_hi:[0,1,1] neg_lo:[0,0,1] neg_hi:[0,0,1]
	v_pk_add_f32 v[60:61], v[98:99], v[60:61]
	v_pk_fma_f32 v[68:69], v[8:9], s[44:45], v[92:93] op_sel:[1,0,0] neg_lo:[0,0,1] neg_hi:[0,0,1]
	v_pk_add_f32 v[60:61], v[100:101], v[60:61]
	s_mov_b32 s34, s27
	s_mov_b32 s35, s24
	v_pk_add_f32 v[60:61], v[68:69], v[60:61]
	v_pk_fma_f32 v[68:69], v[48:49], s[46:47], v[96:97] op_sel:[1,0,0] neg_lo:[0,0,1] neg_hi:[0,0,1]
	s_mov_b32 s30, s15
	s_mov_b32 s31, s9
	v_pk_mul_f32 v[92:93], v[42:43], s[34:35] op_sel:[1,0]
	s_mov_b32 s35, s26
	s_mov_b32 s26, s43
	;; [unrolled: 1-line block ×3, first 2 shown]
	v_pk_add_f32 v[60:61], v[68:69], v[60:61]
	v_pk_mul_f32 v[68:69], v[52:53], s[30:31] op_sel:[1,0]
	s_mov_b32 s28, s29
	s_mov_b32 s29, s14
	v_pk_mul_f32 v[98:99], v[46:47], s[26:27] op_sel:[1,0]
	v_pk_mul_f32 v[46:47], v[46:47], s[22:23] op_sel_hi:[0,1]
	s_mov_b32 s22, s3
	s_mov_b32 s23, s13
	s_mov_b32 s30, s18
	s_mov_b32 s31, s2
	v_pk_mul_f32 v[52:53], v[52:53], s[28:29] op_sel_hi:[0,1]
	v_pk_fma_f32 v[104:105], v[38:39], s[22:23], v[68:69] op_sel:[1,0,0]
	v_pk_fma_f32 v[90:91], v[6:7], s[30:31], v[52:53] op_sel:[1,0,0]
	s_mov_b32 s28, s16
	s_mov_b32 s29, s20
	;; [unrolled: 1-line block ×3, first 2 shown]
	v_pk_add_f32 v[104:105], v[4:5], v[104:105] op_sel:[1,0]
	v_pk_fma_f32 v[38:39], v[38:39], s[22:23], v[68:69] op_sel:[1,0,0] neg_lo:[0,0,1] neg_hi:[0,0,1]
	v_pk_fma_f32 v[94:95], v[44:45], s[28:29], v[92:93] op_sel:[1,0,0]
	s_mov_b32 s24, s13
	s_mov_b32 s25, s3
	v_pk_mul_f32 v[42:43], v[42:43], s[34:35] op_sel_hi:[0,1]
	v_pk_add_f32 v[90:91], v[90:91], v[104:105]
	v_pk_fma_f32 v[6:7], v[6:7], s[30:31], v[52:53] op_sel:[1,0,0] neg_lo:[0,0,1] neg_hi:[0,0,1]
	v_pk_add_f32 v[4:5], v[4:5], v[38:39] op_sel:[1,0]
	v_pk_fma_f32 v[96:97], v[44:45], s[24:25], v[42:43] op_sel_hi:[0,1,1]
	s_mov_b32 s21, s16
	v_pk_add_f32 v[90:91], v[94:95], v[90:91]
	v_pk_fma_f32 v[52:53], v[44:45], s[28:29], v[92:93] op_sel:[1,0,0] neg_lo:[0,0,1] neg_hi:[0,0,1]
	v_pk_add_f32 v[4:5], v[6:7], v[4:5]
	v_pk_fma_f32 v[100:101], v[40:41], s[20:21], v[98:99] op_sel:[1,0,0]
	s_mov_b32 s16, s12
	v_pk_add_f32 v[90:91], v[96:97], v[90:91]
	s_mov_b32 s10, s11
	s_mov_b32 s11, s8
	v_pk_fma_f32 v[42:43], v[44:45], s[24:25], v[42:43] op_sel_hi:[0,1,1] neg_lo:[0,0,1] neg_hi:[0,0,1]
	v_pk_add_f32 v[4:5], v[52:53], v[4:5]
	v_pk_fma_f32 v[102:103], v[40:41], s[16:17], v[46:47] op_sel_hi:[0,1,1]
	v_pk_add_f32 v[90:91], v[100:101], v[90:91]
	s_mov_b32 s26, s17
	s_mov_b32 s27, s12
	v_pk_mul_f32 v[10:11], v[10:11], s[10:11] op_sel_hi:[0,1]
	v_pk_fma_f32 v[44:45], v[40:41], s[20:21], v[98:99] op_sel:[1,0,0] neg_lo:[0,0,1] neg_hi:[0,0,1]
	v_pk_add_f32 v[4:5], v[42:43], v[4:5]
	v_pk_add_f32 v[90:91], v[102:103], v[90:91]
	v_pk_fma_f32 v[94:95], v[8:9], s[26:27], v[10:11] op_sel:[1,0,0]
	s_mov_b32 s15, s19
	v_pk_fma_f32 v[40:41], v[40:41], s[16:17], v[46:47] op_sel_hi:[0,1,1] neg_lo:[0,0,1] neg_hi:[0,0,1]
	v_pk_add_f32 v[4:5], v[44:45], v[4:5]
	v_pk_add_f32 v[90:91], v[94:95], v[90:91]
	s_mov_b32 s3, s18
	v_pk_mul_f32 v[94:95], v[50:51], s[14:15] op_sel_hi:[0,1]
	v_pk_add_f32 v[4:5], v[40:41], v[4:5]
	v_pk_fma_f32 v[6:7], v[8:9], s[26:27], v[10:11] op_sel:[1,0,0] neg_lo:[0,0,1] neg_hi:[0,0,1]
	v_mul_f32_e32 v54, 0x3f7ee86f, v50
	v_pk_add_f32 v[4:5], v[6:7], v[4:5]
	v_pk_fma_f32 v[6:7], v[48:49], s[2:3], v[94:95] op_sel:[1,0,0] neg_lo:[0,0,1] neg_hi:[0,0,1]
	v_mov_b32_e32 v10, v14
	v_pk_add_f32 v[4:5], v[6:7], v[4:5]
	v_mul_f32_e32 v6, 0x3dbcf732, v49
	v_mov_b32_e32 v7, v62
	v_pk_add_f32 v[8:9], v[6:7], v[54:55]
	v_mov_b32_e32 v11, v6
	v_mov_b32_e32 v6, v64
	;; [unrolled: 1-line block ×3, first 2 shown]
	v_pk_add_f32 v[14:15], v[14:15], v[64:65]
	v_pk_add_f32 v[6:7], v[10:11], v[6:7] neg_lo:[0,1] neg_hi:[0,1]
	v_pk_fma_f32 v[96:97], v[48:49], s[2:3], v[94:95] op_sel:[1,0,0]
	v_mov_b32_e32 v15, v7
	v_pk_add_f32 v[6:7], v[8:9], v[14:15]
	v_lshl_add_u32 v8, v0, 6, v70
	v_pk_add_f32 v[90:91], v[96:97], v[90:91]
	ds_write2_b32 v8, v56, v57 offset1:1
	ds_write2_b32 v8, v66, v67 offset0:2 offset1:3
	ds_write2_b32 v8, v72, v73 offset0:4 offset1:5
	;; [unrolled: 1-line block ×7, first 2 shown]
	ds_write_b32 v8, v79 offset:64
.LBB0_15:
	s_or_b64 exec, exec, s[6:7]
	s_movk_i32 s2, 0xf1
	v_add_u32_e32 v52, 0x77, v0
	v_mul_lo_u16_sdwa v13, v0, s2 dst_sel:DWORD dst_unused:UNUSED_PAD src0_sel:BYTE_0 src1_sel:DWORD
	v_lshrrev_b16_e32 v17, 12, v13
	v_mul_lo_u16_sdwa v53, v52, s2 dst_sel:DWORD dst_unused:UNUSED_PAD src0_sel:BYTE_0 src1_sel:DWORD
	s_mov_b32 s2, 0xf0f1
	v_mul_lo_u16_e32 v4, 17, v17
	v_lshrrev_b16_e32 v21, 12, v53
	v_mul_u32_u24_sdwa v56, v74, s2 dst_sel:DWORD dst_unused:UNUSED_PAD src0_sel:WORD_0 src1_sel:DWORD
	v_sub_u16_e32 v19, v0, v4
	v_mul_lo_u16_e32 v4, 17, v21
	v_lshrrev_b32_e32 v25, 20, v56
	v_mul_u32_u24_sdwa v58, v76, s2 dst_sel:DWORD dst_unused:UNUSED_PAD src0_sel:WORD_0 src1_sel:DWORD
	v_sub_u16_e32 v23, v52, v4
	v_mul_lo_u16_e32 v4, 17, v25
	v_lshrrev_b32_e32 v59, 20, v58
	v_mov_b32_e32 v27, 3
	v_sub_u16_e32 v57, v74, v4
	v_mul_lo_u16_e32 v4, 17, v59
	v_mul_u32_u24_sdwa v61, v87, s2 dst_sel:DWORD dst_unused:UNUSED_PAD src0_sel:WORD_0 src1_sel:DWORD
	v_mul_u32_u24_sdwa v64, v85, s2 dst_sel:DWORD dst_unused:UNUSED_PAD src0_sel:WORD_0 src1_sel:DWORD
	v_lshlrev_b32_sdwa v14, v27, v19 dst_sel:DWORD dst_unused:UNUSED_PAD src0_sel:DWORD src1_sel:BYTE_0
	v_lshlrev_b32_sdwa v15, v27, v23 dst_sel:DWORD dst_unused:UNUSED_PAD src0_sel:DWORD src1_sel:BYTE_0
	v_sub_u16_e32 v60, v76, v4
	v_lshrrev_b32_e32 v62, 20, v61
	v_lshrrev_b32_e32 v65, 20, v64
	v_mul_u32_u24_sdwa v67, v86, s2 dst_sel:DWORD dst_unused:UNUSED_PAD src0_sel:WORD_0 src1_sel:DWORD
	v_mul_u32_u24_sdwa v71, v84, s2 dst_sel:DWORD dst_unused:UNUSED_PAD src0_sel:WORD_0 src1_sel:DWORD
	s_waitcnt lgkmcnt(0)
	s_barrier
	v_lshlrev_b32_e32 v38, 3, v57
	v_lshlrev_b32_e32 v39, 3, v60
	global_load_dwordx2 v[4:5], v14, s[4:5]
	global_load_dwordx2 v[6:7], v15, s[4:5]
	;; [unrolled: 1-line block ×4, first 2 shown]
	v_mul_lo_u16_e32 v14, 17, v62
	v_mul_lo_u16_e32 v15, 17, v65
	v_lshrrev_b32_e32 v68, 20, v67
	v_lshrrev_b32_e32 v72, 20, v71
	v_sub_u16_e32 v63, v87, v14
	v_sub_u16_e32 v66, v85, v15
	v_mul_lo_u16_e32 v40, 17, v68
	v_mul_lo_u16_e32 v42, 17, v72
	v_lshlrev_b32_e32 v14, 3, v63
	v_lshlrev_b32_e32 v38, 3, v66
	v_sub_u16_e32 v69, v86, v40
	v_sub_u16_e32 v73, v84, v42
	global_load_dwordx2 v[14:15], v14, s[4:5]
	v_lshlrev_b32_e32 v40, 3, v69
	global_load_dwordx2 v[38:39], v38, s[4:5]
	v_lshlrev_b32_e32 v42, 3, v73
	global_load_dwordx2 v[40:41], v40, s[4:5]
	v_mul_u32_u24_e32 v17, 0x88, v17
	global_load_dwordx2 v[42:43], v42, s[4:5]
	ds_read2_b32 v[44:45], v70 offset1:119
	ds_read2_b32 v[46:47], v12 offset0:56 offset1:175
	ds_read2_b32 v[48:49], v16 offset0:38 offset1:157
	;; [unrolled: 1-line block ×4, first 2 shown]
	ds_read_b32 v90, v75
	ds_read_b32 v91, v77
	;; [unrolled: 1-line block ×6, first 2 shown]
	s_waitcnt lgkmcnt(0)
	s_barrier
	s_mov_b32 s2, 0x5040100
	s_movk_i32 s3, 0x88
	v_cmp_gt_u32_e32 vcc, 34, v0
	s_waitcnt vmcnt(7)
	v_mul_f32_e32 v96, v46, v5
	v_mul_f32_e32 v5, v30, v5
	s_waitcnt vmcnt(6)
	v_mul_f32_e32 v97, v47, v7
	v_mul_f32_e32 v7, v31, v7
	;; [unrolled: 3-line block ×4, first 2 shown]
	v_fma_f32 v30, v30, v4, -v96
	v_fmac_f32_e32 v5, v46, v4
	v_fma_f32 v4, v31, v6, -v97
	v_fmac_f32_e32 v7, v47, v6
	;; [unrolled: 2-line block ×4, first 2 shown]
	s_waitcnt vmcnt(3)
	v_mul_f32_e32 v100, v50, v15
	v_mul_f32_e32 v15, v34, v15
	s_waitcnt vmcnt(2)
	v_mul_f32_e32 v101, v51, v39
	v_fma_f32 v10, v34, v14, -v100
	v_fmac_f32_e32 v15, v50, v14
	v_fma_f32 v14, v35, v38, -v101
	v_mul_f32_e32 v31, v35, v39
	s_waitcnt vmcnt(0)
	v_mul_f32_e32 v35, v37, v43
	v_mul_f32_e32 v34, v55, v43
	v_fmac_f32_e32 v35, v55, v42
	v_mov_b32_e32 v55, 2
	v_mul_f32_e32 v32, v54, v41
	v_sub_f32_e32 v30, v28, v30
	v_lshlrev_b32_sdwa v19, v55, v19 dst_sel:DWORD dst_unused:UNUSED_PAD src0_sel:DWORD src1_sel:BYTE_0
	v_fma_f32 v32, v36, v40, -v32
	v_mul_f32_e32 v33, v36, v41
	v_sub_f32_e32 v36, v44, v5
	v_fma_f32 v5, v28, 2.0, -v30
	v_add3_u32 v17, 0, v17, v19
	v_sub_f32_e32 v4, v29, v4
	ds_write2_b32 v17, v5, v30 offset1:17
	v_mul_u32_u24_e32 v5, 0x88, v21
	v_lshlrev_b32_sdwa v19, v55, v23 dst_sel:DWORD dst_unused:UNUSED_PAD src0_sel:DWORD src1_sel:BYTE_0
	v_fma_f32 v34, v37, v42, -v34
	v_sub_f32_e32 v37, v45, v7
	v_fma_f32 v7, v29, 2.0, -v4
	v_add3_u32 v19, 0, v5, v19
	ds_write2_b32 v19, v7, v4 offset1:17
	v_perm_b32 v4, v59, v25, s2
	v_pk_mul_lo_u16 v4, v4, s3 op_sel_hi:[1,0]
	v_sub_f32_e32 v6, v89, v6
	v_and_b32_e32 v5, 0xfff8, v4
	v_lshlrev_b32_e32 v7, 2, v57
	v_fmac_f32_e32 v31, v51, v38
	v_fma_f32 v38, v89, 2.0, -v6
	v_add3_u32 v30, 0, v5, v7
	v_lshrrev_b32_e32 v4, 16, v4
	v_lshlrev_b32_e32 v5, 2, v60
	ds_write2_b32 v30, v38, v6 offset1:17
	v_add3_u32 v38, 0, v4, v5
	v_perm_b32 v4, v65, v62, s2
	v_sub_f32_e32 v8, v88, v8
	v_pk_mul_lo_u16 v4, v4, s3 op_sel_hi:[1,0]
	v_fmac_f32_e32 v33, v54, v40
	v_fma_f32 v40, v88, 2.0, -v8
	v_sub_f32_e32 v10, v26, v10
	v_and_b32_e32 v5, 0xfff8, v4
	v_lshlrev_b32_e32 v6, 2, v63
	v_fma_f32 v26, v26, 2.0, -v10
	ds_write2_b32 v38, v40, v8 offset1:17
	v_add3_u32 v8, 0, v5, v6
	v_lshrrev_b32_e32 v4, 16, v4
	v_lshlrev_b32_e32 v5, 2, v66
	ds_write2_b32 v8, v26, v10 offset1:17
	v_add3_u32 v10, 0, v4, v5
	v_perm_b32 v4, v72, v68, s2
	v_sub_f32_e32 v14, v24, v14
	v_pk_mul_lo_u16 v4, v4, s3 op_sel_hi:[1,0]
	v_fma_f32 v24, v24, 2.0, -v14
	v_and_b32_e32 v5, 0xfff8, v4
	v_lshlrev_b32_e32 v6, 2, v69
	v_sub_f32_e32 v32, v22, v32
	v_sub_f32_e32 v34, v20, v34
	ds_write2_b32 v10, v24, v14 offset1:17
	v_add3_u32 v14, 0, v5, v6
	v_lshrrev_b32_e32 v4, 16, v4
	v_lshlrev_b32_e32 v5, 2, v73
	v_fma_f32 v28, v44, 2.0, -v36
	v_sub_f32_e32 v9, v90, v9
	v_sub_f32_e32 v11, v91, v11
	;; [unrolled: 1-line block ×5, first 2 shown]
	v_fma_f32 v22, v22, 2.0, -v32
	v_sub_f32_e32 v35, v95, v35
	v_fma_f32 v20, v20, 2.0, -v34
	v_add3_u32 v26, 0, v4, v5
	v_fma_f32 v29, v45, 2.0, -v37
	v_fma_f32 v39, v90, 2.0, -v9
	;; [unrolled: 1-line block ×7, first 2 shown]
	ds_write2_b32 v14, v22, v32 offset1:17
	ds_write2_b32 v26, v20, v34 offset1:17
	s_waitcnt lgkmcnt(0)
	s_barrier
	ds_read2_b32 v[6:7], v70 offset1:119
	ds_read2_b32 v[24:25], v12 offset0:56 offset1:175
	ds_read2_b32 v[22:23], v16 offset0:38 offset1:157
	;; [unrolled: 1-line block ×4, first 2 shown]
	ds_read_b32 v54, v75
	ds_read_b32 v57, v77
	;; [unrolled: 1-line block ×6, first 2 shown]
	s_waitcnt lgkmcnt(0)
	s_barrier
	ds_write2_b32 v17, v28, v36 offset1:17
	ds_write2_b32 v19, v29, v37 offset1:17
	;; [unrolled: 1-line block ×8, first 2 shown]
	v_lshrrev_b16_e32 v8, 13, v13
	v_mul_lo_u16_e32 v9, 34, v8
	v_lshrrev_b16_e32 v11, 13, v53
	v_lshrrev_b32_e32 v15, 21, v56
	v_lshrrev_b32_e32 v56, 21, v58
	v_sub_u16_e32 v9, v0, v9
	v_mul_lo_u16_e32 v13, 34, v11
	v_mul_lo_u16_e32 v17, 34, v15
	v_mul_lo_u16_e32 v26, 34, v56
	v_lshlrev_b32_sdwa v10, v27, v9 dst_sel:DWORD dst_unused:UNUSED_PAD src0_sel:DWORD src1_sel:BYTE_0
	v_sub_u16_e32 v13, v52, v13
	v_sub_u16_e32 v17, v74, v17
	;; [unrolled: 1-line block ×3, first 2 shown]
	s_waitcnt lgkmcnt(0)
	s_barrier
	v_lshlrev_b32_sdwa v14, v27, v13 dst_sel:DWORD dst_unused:UNUSED_PAD src0_sel:DWORD src1_sel:BYTE_0
	v_lshlrev_b32_e32 v19, 3, v17
	v_lshlrev_b32_e32 v34, 3, v58
	global_load_dwordx2 v[32:33], v10, s[4:5] offset:136
	global_load_dwordx2 v[30:31], v14, s[4:5] offset:136
	;; [unrolled: 1-line block ×4, first 2 shown]
	v_lshrrev_b32_e32 v10, 21, v61
	v_mul_lo_u16_e32 v14, 34, v10
	v_sub_u16_e32 v14, v87, v14
	v_lshrrev_b32_e32 v72, 21, v64
	v_lshlrev_b32_e32 v19, 3, v14
	v_mul_lo_u16_e32 v34, 34, v72
	v_sub_u16_e32 v73, v85, v34
	global_load_dwordx2 v[42:43], v19, s[4:5] offset:136
	v_lshlrev_b32_e32 v34, 3, v73
	global_load_dwordx2 v[40:41], v34, s[4:5] offset:136
	v_lshrrev_b32_e32 v85, 21, v67
	v_mul_lo_u16_e32 v35, 34, v85
	v_sub_u16_e32 v86, v86, v35
	v_lshlrev_b32_e32 v35, 3, v86
	global_load_dwordx2 v[38:39], v35, s[4:5] offset:136
	v_lshrrev_b32_e32 v87, 21, v71
	v_mul_lo_u16_e32 v19, 34, v87
	v_sub_u16_e32 v19, v84, v19
	v_lshlrev_b32_e32 v34, 3, v19
	global_load_dwordx2 v[36:37], v34, s[4:5] offset:136
	ds_read2_b32 v[34:35], v70 offset1:119
	ds_read2_b32 v[50:51], v12 offset0:56 offset1:175
	ds_read2_b32 v[48:49], v16 offset0:38 offset1:157
	;; [unrolled: 1-line block ×4, first 2 shown]
	ds_read_b32 v64, v75
	ds_read_b32 v63, v77
	;; [unrolled: 1-line block ×6, first 2 shown]
	v_mul_u32_u24_e32 v8, 0x110, v8
	v_lshlrev_b32_sdwa v9, v55, v9 dst_sel:DWORD dst_unused:UNUSED_PAD src0_sel:DWORD src1_sel:BYTE_0
	s_waitcnt lgkmcnt(0)
	s_barrier
	s_movk_i32 s3, 0x110
	s_waitcnt vmcnt(7)
	v_mul_f32_e32 v12, v50, v33
	v_fma_f32 v12, v24, v32, -v12
	v_sub_f32_e32 v12, v6, v12
	s_waitcnt vmcnt(6)
	v_mul_f32_e32 v16, v51, v31
	v_fma_f32 v6, v6, 2.0, -v12
	v_fma_f32 v16, v25, v30, -v16
	v_sub_f32_e32 v16, v7, v16
	v_fma_f32 v7, v7, 2.0, -v16
	s_waitcnt vmcnt(5)
	v_mul_f32_e32 v18, v48, v29
	v_fma_f32 v18, v22, v28, -v18
	s_waitcnt vmcnt(4)
	v_mul_f32_e32 v53, v49, v27
	s_waitcnt vmcnt(3)
	v_mul_f32_e32 v67, v46, v43
	v_fma_f32 v67, v20, v42, -v67
	s_waitcnt vmcnt(2)
	v_mul_f32_e32 v71, v47, v41
	v_sub_f32_e32 v88, v65, v67
	v_fma_f32 v71, v21, v40, -v71
	v_fma_f32 v89, v65, 2.0, -v88
	v_add3_u32 v65, 0, v8, v9
	v_sub_f32_e32 v90, v66, v71
	ds_write2_b32 v65, v6, v12 offset1:34
	v_mul_u32_u24_e32 v6, 0x110, v11
	v_lshlrev_b32_sdwa v8, v55, v13 dst_sel:DWORD dst_unused:UNUSED_PAD src0_sel:DWORD src1_sel:BYTE_0
	v_fma_f32 v91, v66, 2.0, -v90
	v_add3_u32 v66, 0, v6, v8
	v_perm_b32 v6, v56, v15, s2
	s_waitcnt vmcnt(1)
	v_mul_f32_e32 v81, v44, v39
	v_pk_mul_lo_u16 v6, v6, s3 op_sel_hi:[1,0]
	v_fma_f32 v81, v4, v38, -v81
	ds_write2_b32 v66, v7, v16 offset1:34
	v_and_b32_e32 v7, 0xfff0, v6
	v_lshlrev_b32_e32 v8, 2, v17
	v_sub_f32_e32 v81, v68, v81
	v_add3_u32 v67, 0, v7, v8
	v_lshrrev_b32_e32 v6, 16, v6
	v_lshlrev_b32_e32 v7, 2, v58
	s_waitcnt vmcnt(0)
	v_mul_f32_e32 v82, v45, v37
	v_fma_f32 v92, v68, 2.0, -v81
	v_add3_u32 v68, 0, v6, v7
	v_perm_b32 v6, v72, v10, s2
	v_fma_f32 v82, v5, v36, -v82
	v_sub_f32_e32 v18, v54, v18
	v_pk_mul_lo_u16 v6, v6, s3 op_sel_hi:[1,0]
	v_fma_f32 v53, v23, v26, -v53
	v_fma_f32 v83, v54, 2.0, -v18
	v_sub_f32_e32 v54, v69, v82
	v_and_b32_e32 v7, 0xfff0, v6
	v_lshlrev_b32_e32 v8, 2, v14
	v_sub_f32_e32 v84, v57, v53
	v_fma_f32 v53, v69, 2.0, -v54
	v_add3_u32 v69, 0, v7, v8
	v_lshrrev_b32_e32 v6, 16, v6
	v_lshlrev_b32_e32 v7, 2, v73
	v_add3_u32 v71, 0, v6, v7
	v_perm_b32 v6, v87, v85, s2
	v_pk_mul_lo_u16 v6, v6, s3 op_sel_hi:[1,0]
	v_lshlrev_b32_e32 v8, 2, v86
	v_and_b32_e32 v7, 0xfff0, v6
	v_fma_f32 v57, v57, 2.0, -v84
	v_add3_u32 v72, 0, v7, v8
	v_lshrrev_b32_e32 v6, 16, v6
	v_lshlrev_b32_e32 v7, 2, v19
	ds_write2_b32 v67, v83, v18 offset1:34
	ds_write2_b32 v68, v57, v84 offset1:34
	;; [unrolled: 1-line block ×5, first 2 shown]
	v_add3_u32 v73, 0, v6, v7
	v_add_u32_e32 v81, 0x400, v70
	v_add_u32_e32 v82, 0x800, v70
	;; [unrolled: 1-line block ×5, first 2 shown]
	ds_write2_b32 v73, v53, v54 offset1:34
	s_waitcnt lgkmcnt(0)
	s_barrier
	ds_read2_b32 v[6:7], v70 offset1:119
	ds_read2_b32 v[10:11], v81 offset0:16 offset1:135
	ds_read2_b32 v[12:13], v82 offset0:32 offset1:151
	;; [unrolled: 1-line block ×6, first 2 shown]
                                        ; implicit-def: $vgpr57
                                        ; implicit-def: $vgpr55
                                        ; implicit-def: $vgpr56
                                        ; implicit-def: $vgpr58
	s_and_saveexec_b64 s[2:3], vcc
	s_cbranch_execz .LBB0_17
; %bb.16:
	ds_read_b32 v54, v70 offset:2040
	ds_read_b32 v1, v70 offset:3128
	;; [unrolled: 1-line block ×5, first 2 shown]
	ds_read_b32 v53, v75
	ds_read_b32 v55, v70 offset:7480
.LBB0_17:
	s_or_b64 exec, exec, s[2:3]
	v_mul_f32_e32 v24, v24, v33
	v_mul_f32_e32 v25, v25, v31
	;; [unrolled: 1-line block ×6, first 2 shown]
	v_fmac_f32_e32 v24, v50, v32
	v_fmac_f32_e32 v25, v51, v30
	;; [unrolled: 1-line block ×6, first 2 shown]
	v_mul_f32_e32 v4, v4, v39
	v_mul_f32_e32 v5, v5, v37
	v_fmac_f32_e32 v4, v44, v38
	v_fmac_f32_e32 v5, v45, v36
	v_sub_f32_e32 v24, v34, v24
	v_sub_f32_e32 v25, v35, v25
	;; [unrolled: 1-line block ×6, first 2 shown]
	v_fma_f32 v26, v34, 2.0, -v24
	v_fma_f32 v27, v35, 2.0, -v25
	;; [unrolled: 1-line block ×6, first 2 shown]
	v_sub_f32_e32 v4, v60, v4
	v_sub_f32_e32 v45, v59, v5
	v_fma_f32 v33, v60, 2.0, -v4
	v_fma_f32 v32, v59, 2.0, -v45
	s_waitcnt lgkmcnt(0)
	s_barrier
	ds_write2_b32 v65, v26, v24 offset1:34
	ds_write2_b32 v66, v27, v25 offset1:34
	;; [unrolled: 1-line block ×8, first 2 shown]
	s_waitcnt lgkmcnt(0)
	s_barrier
	ds_read2_b32 v[4:5], v70 offset1:119
	ds_read2_b32 v[30:31], v81 offset0:16 offset1:135
	ds_read2_b32 v[28:29], v82 offset0:32 offset1:151
	;; [unrolled: 1-line block ×5, first 2 shown]
	v_add_u32_e32 v22, 0x1800, v70
	ds_read2_b32 v[22:23], v22 offset0:96 offset1:215
                                        ; implicit-def: $vgpr48
                                        ; implicit-def: $vgpr46
                                        ; implicit-def: $vgpr47
                                        ; implicit-def: $vgpr49
	s_and_saveexec_b64 s[2:3], vcc
	s_cbranch_execz .LBB0_19
; %bb.18:
	ds_read_b32 v45, v70 offset:2040
	ds_read_b32 v79, v70 offset:3128
	;; [unrolled: 1-line block ×5, first 2 shown]
	ds_read_b32 v32, v75
	ds_read_b32 v46, v70 offset:7480
.LBB0_19:
	s_or_b64 exec, exec, s[2:3]
	s_movk_i32 s2, 0x44
	v_add_u32_e32 v33, 0xffffffbc, v0
	v_cmp_gt_u32_e64 s[2:3], s2, v0
	v_mov_b32_e32 v35, 0
	s_mov_b32 s6, 0x3f5ff5aa
	v_cndmask_b32_e64 v50, v33, v0, s[2:3]
	v_mul_i32_i24_e32 v34, 6, v50
	v_lshl_add_u64 v[34:35], v[34:35], 3, s[4:5]
	s_movk_i32 s2, 0x79
	global_load_dwordx4 v[40:43], v[34:35], off offset:408
	global_load_dwordx4 v[60:63], v[34:35], off offset:424
	;; [unrolled: 1-line block ×3, first 2 shown]
	v_mul_lo_u16_sdwa v34, v52, s2 dst_sel:DWORD dst_unused:UNUSED_PAD src0_sel:BYTE_0 src1_sel:DWORD
	v_lshrrev_b16_e32 v51, 13, v34
	v_mul_lo_u16_e32 v34, 0x44, v51
	v_mov_b32_e32 v33, 6
	v_sub_u16_e32 v59, v52, v34
	v_mul_u32_u24_sdwa v33, v59, v33 dst_sel:DWORD dst_unused:UNUSED_PAD src0_sel:BYTE_0 src1_sel:DWORD
	v_lshlrev_b32_e32 v33, 3, v33
	s_mov_b32 s2, 0xf0f1
	global_load_dwordx4 v[80:83], v33, s[4:5] offset:408
	global_load_dwordx4 v[84:87], v33, s[4:5] offset:440
	;; [unrolled: 1-line block ×3, first 2 shown]
	v_mul_u32_u24_sdwa v33, v74, s2 dst_sel:DWORD dst_unused:UNUSED_PAD src0_sel:WORD_0 src1_sel:DWORD
	v_lshrrev_b32_e32 v33, 22, v33
	v_mul_lo_u16_e32 v33, 0x44, v33
	v_sub_u16_e32 v68, v74, v33
	v_mul_u32_u24_e32 v33, 6, v68
	v_lshlrev_b32_e32 v33, 3, v33
	global_load_dwordx4 v[92:95], v33, s[4:5] offset:408
	global_load_dwordx4 v[96:99], v33, s[4:5] offset:424
	;; [unrolled: 1-line block ×3, first 2 shown]
	s_mov_b32 s7, 0x3f3bfb3b
	s_mov_b32 s8, 0xbf3bfb3b
	;; [unrolled: 1-line block ×3, first 2 shown]
	s_movk_i32 s2, 0x43
	v_cmp_lt_u32_e64 s[2:3], s2, v0
	s_waitcnt lgkmcnt(0)
	s_barrier
	s_waitcnt vmcnt(8)
	v_mul_f32_e32 v39, v28, v43
	v_mul_f32_e32 v34, v12, v43
	s_waitcnt vmcnt(7)
	v_mul_f32_e32 v44, v24, v63
	v_mul_f32_e32 v38, v30, v41
	;; [unrolled: 1-line block ×6, first 2 shown]
	v_fma_f32 v39, v12, v42, -v39
	v_fmac_f32_e32 v34, v28, v42
	v_fma_f32 v42, v16, v62, -v44
	s_waitcnt vmcnt(4)
	v_mul_f32_e32 v16, v19, v85
	v_mul_f32_e32 v63, v22, v67
	v_fma_f32 v38, v10, v40, -v38
	v_fmac_f32_e32 v33, v30, v40
	v_fma_f32 v40, v14, v60, -v43
	v_fmac_f32_e32 v35, v26, v60
	s_waitcnt vmcnt(3)
	v_mul_f32_e32 v14, v17, v91
	v_mul_f32_e32 v60, v21, v85
	v_fmac_f32_e32 v16, v21, v84
	s_waitcnt vmcnt(1)
	v_mul_f32_e32 v21, v48, v99
	v_mul_f32_e32 v61, v20, v65
	;; [unrolled: 1-line block ×4, first 2 shown]
	v_fma_f32 v44, v8, v66, -v63
	v_mul_f32_e32 v8, v11, v81
	v_mul_f32_e32 v28, v27, v89
	;; [unrolled: 1-line block ×3, first 2 shown]
	v_fmac_f32_e32 v14, v25, v90
	v_fma_f32 v25, v57, v98, -v21
	s_waitcnt vmcnt(0)
	v_mul_f32_e32 v21, v47, v101
	v_fmac_f32_e32 v36, v24, v62
	v_fma_f32 v43, v18, v64, -v61
	v_fmac_f32_e32 v37, v20, v64
	v_mul_f32_e32 v20, v31, v81
	v_mul_f32_e32 v24, v29, v83
	;; [unrolled: 1-line block ×5, first 2 shown]
	v_fmac_f32_e32 v8, v31, v80
	v_fma_f32 v15, v15, v88, -v28
	v_fma_f32 v28, v56, v100, -v21
	v_mul_f32_e32 v21, v46, v103
	v_mul_f32_e32 v31, v55, v103
	v_fmac_f32_e32 v41, v22, v66
	v_mul_f32_e32 v61, v23, v87
	v_mul_f32_e32 v62, v45, v93
	;; [unrolled: 1-line block ×3, first 2 shown]
	v_fma_f32 v13, v13, v82, -v24
	v_fmac_f32_e32 v10, v29, v82
	v_fmac_f32_e32 v12, v27, v88
	v_fma_f32 v24, v17, v90, -v30
	v_fmac_f32_e32 v18, v23, v86
	v_mul_f32_e32 v23, v58, v97
	v_mul_f32_e32 v27, v57, v99
	;; [unrolled: 1-line block ×3, first 2 shown]
	v_fma_f32 v30, v55, v102, -v21
	v_fmac_f32_e32 v31, v46, v102
	v_add_f32_e32 v21, v38, v44
	v_add_f32_e32 v46, v39, v43
	v_mul_f32_e32 v64, v49, v97
	v_fma_f32 v20, v11, v80, -v20
	v_fma_f32 v11, v54, v92, -v62
	v_fmac_f32_e32 v22, v45, v92
	v_fmac_f32_e32 v23, v49, v96
	;; [unrolled: 1-line block ×4, first 2 shown]
	v_sub_f32_e32 v45, v33, v41
	v_sub_f32_e32 v47, v34, v37
	v_add_f32_e32 v48, v40, v42
	v_sub_f32_e32 v49, v36, v35
	v_add_f32_e32 v54, v46, v21
	v_sub_f32_e32 v55, v46, v21
	v_sub_f32_e32 v21, v21, v48
	;; [unrolled: 1-line block ×3, first 2 shown]
	v_add_f32_e32 v56, v49, v47
	v_sub_f32_e32 v57, v49, v47
	v_sub_f32_e32 v47, v47, v45
	v_add_f32_e32 v48, v48, v54
	v_sub_f32_e32 v49, v45, v49
	v_add_f32_e32 v45, v56, v45
	v_add_f32_e32 v6, v6, v48
	v_mul_f32_e32 v21, 0x3f4a47b2, v21
	v_mul_f32_e32 v54, 0x3d64c772, v46
	;; [unrolled: 1-line block ×4, first 2 shown]
	v_fmamk_f32 v48, v48, 0xbf955555, v6
	v_fma_f32 v54, v55, s7, -v54
	v_fma_f32 v55, v55, s8, -v21
	v_fmac_f32_e32 v21, 0x3d64c772, v46
	v_fma_f32 v46, v47, s6, -v56
	v_fma_f32 v47, v49, s9, -v57
	;; [unrolled: 1-line block ×4, first 2 shown]
	v_fmac_f32_e32 v56, 0x3eae86e6, v49
	v_add_f32_e32 v21, v21, v48
	v_add_f32_e32 v49, v54, v48
	;; [unrolled: 1-line block ×3, first 2 shown]
	v_fmac_f32_e32 v47, 0x3ee1c552, v45
	v_fmac_f32_e32 v56, 0x3ee1c552, v45
	;; [unrolled: 1-line block ×3, first 2 shown]
	v_add_f32_e32 v55, v47, v48
	v_sub_f32_e32 v47, v48, v47
	v_add_f32_e32 v45, v20, v9
	v_add_f32_e32 v48, v13, v19
	v_mul_f32_e32 v63, v79, v95
	v_fma_f32 v17, v58, v96, -v64
	v_add_f32_e32 v54, v56, v21
	v_sub_f32_e32 v57, v49, v46
	v_add_f32_e32 v49, v46, v49
	v_sub_f32_e32 v21, v21, v56
	v_sub_f32_e32 v46, v8, v18
	;; [unrolled: 1-line block ×3, first 2 shown]
	v_add_f32_e32 v58, v15, v24
	v_sub_f32_e32 v60, v14, v12
	v_add_f32_e32 v61, v48, v45
	v_mul_f32_e32 v26, v1, v95
	v_fma_f32 v1, v1, v94, -v63
	v_sub_f32_e32 v62, v48, v45
	v_sub_f32_e32 v45, v45, v58
	;; [unrolled: 1-line block ×3, first 2 shown]
	v_add_f32_e32 v63, v60, v56
	v_sub_f32_e32 v64, v60, v56
	v_sub_f32_e32 v56, v56, v46
	v_add_f32_e32 v58, v58, v61
	v_sub_f32_e32 v60, v46, v60
	v_add_f32_e32 v46, v63, v46
	v_add_f32_e32 v7, v7, v58
	v_mul_f32_e32 v45, 0x3f4a47b2, v45
	v_mul_f32_e32 v61, 0x3d64c772, v48
	;; [unrolled: 1-line block ×4, first 2 shown]
	v_fmamk_f32 v58, v58, 0xbf955555, v7
	v_fma_f32 v61, v62, s7, -v61
	v_fma_f32 v62, v62, s8, -v45
	v_fmac_f32_e32 v45, 0x3d64c772, v48
	v_fma_f32 v48, v56, s6, -v63
	v_fmac_f32_e32 v63, 0x3eae86e6, v60
	v_fma_f32 v56, v60, s9, -v64
	v_add_f32_e32 v45, v45, v58
	v_add_f32_e32 v60, v61, v58
	;; [unrolled: 1-line block ×3, first 2 shown]
	v_fmac_f32_e32 v63, 0x3ee1c552, v46
	v_fmac_f32_e32 v56, 0x3ee1c552, v46
	v_add_f32_e32 v61, v63, v45
	v_add_f32_e32 v62, v56, v58
	v_sub_f32_e32 v56, v58, v56
	v_sub_f32_e32 v58, v45, v63
	v_mov_b32_e32 v45, 0x770
	v_fmac_f32_e32 v48, 0x3ee1c552, v46
	v_cndmask_b32_e64 v45, 0, v45, s[2:3]
	v_lshlrev_b32_e32 v46, 2, v50
	v_add3_u32 v45, 0, v45, v46
	v_add_u32_e32 v46, 0x400, v45
	ds_write2_b32 v45, v6, v54 offset1:68
	ds_write2_b32 v45, v55, v57 offset0:136 offset1:204
	ds_write2_b32 v46, v49, v47 offset0:16 offset1:84
	ds_write_b32 v45, v21 offset:1632
	v_mov_b32_e32 v21, 2
	v_mul_u32_u24_e32 v6, 0x770, v51
	v_lshlrev_b32_sdwa v21, v21, v59 dst_sel:DWORD dst_unused:UNUSED_PAD src0_sel:DWORD src1_sel:BYTE_0
	v_add3_u32 v47, 0, v6, v21
	v_fmac_f32_e32 v26, v79, v94
	v_sub_f32_e32 v64, v60, v48
	v_add_f32_e32 v60, v48, v60
	ds_write2_b32 v47, v7, v61 offset1:68
	ds_write2_b32 v47, v62, v64 offset0:136 offset1:204
	v_add_u32_e32 v48, 0x400, v47
	v_lshl_add_u32 v7, v68, 2, 0
	ds_write2_b32 v48, v60, v56 offset0:16 offset1:84
	ds_write_b32 v47, v58 offset:1632
	s_and_saveexec_b64 s[2:3], vcc
	s_cbranch_execz .LBB0_21
; %bb.20:
	v_add_f32_e32 v6, v11, v30
	v_add_f32_e32 v50, v1, v28
	;; [unrolled: 1-line block ×4, first 2 shown]
	v_sub_f32_e32 v56, v27, v23
	v_sub_f32_e32 v58, v26, v29
	;; [unrolled: 1-line block ×4, first 2 shown]
	v_add_f32_e32 v21, v21, v55
	v_sub_f32_e32 v55, v22, v31
	v_sub_f32_e32 v59, v56, v58
	v_mul_f32_e32 v49, 0x3f4a47b2, v49
	v_mul_f32_e32 v54, 0x3d64c772, v51
	v_add_f32_e32 v53, v53, v21
	v_sub_f32_e32 v57, v55, v56
	v_mul_f32_e32 v59, 0xbf08b237, v59
	v_add_f32_e32 v56, v56, v58
	v_sub_f32_e32 v6, v50, v6
	v_sub_f32_e32 v50, v58, v55
	v_fmamk_f32 v51, v51, 0x3d64c772, v49
	v_fmamk_f32 v21, v21, 0xbf955555, v53
	;; [unrolled: 1-line block ×3, first 2 shown]
	v_add_f32_e32 v56, v56, v55
	v_fma_f32 v49, v6, s8, -v49
	v_mul_f32_e32 v55, 0x3f5ff5aa, v50
	v_fma_f32 v50, v50, s6, -v59
	v_fma_f32 v6, v6, s7, -v54
	v_add_f32_e32 v51, v51, v21
	v_fmac_f32_e32 v60, 0x3ee1c552, v56
	v_fma_f32 v55, v57, s9, -v55
	v_fmac_f32_e32 v50, 0x3ee1c552, v56
	v_add_f32_e32 v6, v6, v21
	v_sub_f32_e32 v61, v51, v60
	v_add_f32_e32 v49, v49, v21
	v_fmac_f32_e32 v55, 0x3ee1c552, v56
	v_add_f32_e32 v21, v50, v6
	v_sub_f32_e32 v6, v6, v50
	v_add_f32_e32 v50, v60, v51
	v_add_u32_e32 v51, 0x1400, v7
	v_sub_f32_e32 v57, v49, v55
	v_add_f32_e32 v49, v55, v49
	ds_write2_b32 v51, v53, v50 offset0:148 offset1:216
	v_add_u32_e32 v50, 0x1800, v7
	ds_write2_b32 v50, v49, v6 offset0:28 offset1:96
	ds_write2_b32 v50, v21, v57 offset0:164 offset1:232
	ds_write_b32 v7, v61 offset:7344
.LBB0_21:
	s_or_b64 exec, exec, s[2:3]
	v_add_f32_e32 v6, v33, v41
	v_add_f32_e32 v33, v34, v37
	v_sub_f32_e32 v21, v38, v44
	v_sub_f32_e32 v34, v39, v43
	v_add_f32_e32 v35, v35, v36
	v_sub_f32_e32 v36, v42, v40
	v_add_f32_e32 v37, v33, v6
	v_sub_f32_e32 v38, v33, v6
	v_sub_f32_e32 v6, v6, v35
	;; [unrolled: 1-line block ×3, first 2 shown]
	v_add_f32_e32 v39, v36, v34
	v_sub_f32_e32 v40, v36, v34
	v_sub_f32_e32 v34, v34, v21
	v_add_f32_e32 v35, v35, v37
	v_sub_f32_e32 v36, v21, v36
	v_add_f32_e32 v21, v39, v21
	v_add_f32_e32 v37, v4, v35
	v_mul_f32_e32 v4, 0x3f4a47b2, v6
	v_mul_f32_e32 v6, 0x3d64c772, v33
	;; [unrolled: 1-line block ×4, first 2 shown]
	v_fmamk_f32 v35, v35, 0xbf955555, v37
	v_fma_f32 v6, v38, s7, -v6
	v_fma_f32 v38, v38, s8, -v4
	v_fmac_f32_e32 v4, 0x3d64c772, v33
	v_fma_f32 v33, v34, s6, -v39
	v_fmac_f32_e32 v39, 0x3eae86e6, v36
	v_fma_f32 v34, v36, s9, -v40
	v_add_f32_e32 v4, v4, v35
	v_add_f32_e32 v6, v6, v35
	;; [unrolled: 1-line block ×3, first 2 shown]
	v_fmac_f32_e32 v39, 0x3ee1c552, v21
	v_fmac_f32_e32 v34, 0x3ee1c552, v21
	;; [unrolled: 1-line block ×3, first 2 shown]
	v_sub_f32_e32 v36, v4, v39
	v_sub_f32_e32 v38, v35, v34
	v_add_f32_e32 v34, v34, v35
	v_add_f32_e32 v35, v39, v4
	;; [unrolled: 1-line block ×5, first 2 shown]
	v_sub_f32_e32 v33, v6, v33
	v_sub_f32_e32 v6, v20, v9
	;; [unrolled: 1-line block ×3, first 2 shown]
	v_add_f32_e32 v10, v12, v14
	v_sub_f32_e32 v12, v24, v15
	v_add_f32_e32 v13, v8, v4
	v_sub_f32_e32 v14, v8, v4
	v_sub_f32_e32 v4, v4, v10
	;; [unrolled: 1-line block ×3, first 2 shown]
	v_add_f32_e32 v15, v12, v9
	v_sub_f32_e32 v16, v12, v9
	v_sub_f32_e32 v9, v9, v6
	v_add_f32_e32 v10, v10, v13
	v_sub_f32_e32 v12, v6, v12
	v_add_f32_e32 v6, v15, v6
	v_add_f32_e32 v39, v5, v10
	v_mul_f32_e32 v4, 0x3f4a47b2, v4
	v_mul_f32_e32 v5, 0x3d64c772, v8
	;; [unrolled: 1-line block ×4, first 2 shown]
	v_fmamk_f32 v10, v10, 0xbf955555, v39
	v_fma_f32 v5, v14, s7, -v5
	v_fma_f32 v14, v14, s8, -v4
	v_fmac_f32_e32 v4, 0x3d64c772, v8
	v_fma_f32 v8, v9, s6, -v13
	v_fmac_f32_e32 v13, 0x3eae86e6, v12
	v_fma_f32 v9, v12, s9, -v15
	v_add_f32_e32 v4, v4, v10
	v_add_f32_e32 v5, v5, v10
	;; [unrolled: 1-line block ×3, first 2 shown]
	v_fmac_f32_e32 v13, 0x3ee1c552, v6
	v_fmac_f32_e32 v8, 0x3ee1c552, v6
	;; [unrolled: 1-line block ×3, first 2 shown]
	v_add_u32_e32 v6, 0x1400, v70
	v_sub_f32_e32 v42, v10, v9
	v_add_f32_e32 v43, v8, v5
	v_sub_f32_e32 v44, v5, v8
	v_add_f32_e32 v49, v9, v10
	s_waitcnt lgkmcnt(0)
	s_barrier
	ds_read2_b32 v[8:9], v6 offset0:29 offset1:148
	v_add_u32_e32 v6, 0x800, v70
	v_sub_f32_e32 v41, v4, v13
	v_add_f32_e32 v50, v13, v4
	ds_read2_b32 v[12:13], v6 offset0:83 offset1:202
	v_add_u32_e32 v6, 0x1000, v70
	v_add_u32_e32 v4, 0xc00, v70
	ds_read2_b32 v[18:19], v6 offset0:47 offset1:166
	v_add_u32_e32 v6, 0x1800, v70
	ds_read2_b32 v[20:21], v70 offset1:119
	ds_read2_b32 v[4:5], v4 offset0:65 offset1:184
	ds_read2_b32 v[14:15], v6 offset0:11 offset1:130
	ds_read_b32 v24, v78
	ds_read_b32 v6, v77
	;; [unrolled: 1-line block ×3, first 2 shown]
	ds_read_b32 v10, v70 offset:7140
	s_waitcnt lgkmcnt(0)
	s_barrier
	ds_write2_b32 v45, v37, v36 offset1:68
	ds_write2_b32 v45, v38, v40 offset0:136 offset1:204
	ds_write2_b32 v46, v33, v34 offset0:16 offset1:84
	ds_write_b32 v45, v35 offset:1632
	ds_write2_b32 v47, v39, v41 offset1:68
	ds_write2_b32 v47, v42, v43 offset0:136 offset1:204
	ds_write2_b32 v48, v44, v49 offset0:16 offset1:84
	ds_write_b32 v47, v50 offset:1632
	s_and_saveexec_b64 s[2:3], vcc
	s_cbranch_execz .LBB0_23
; %bb.22:
	v_add_f32_e32 v22, v22, v31
	v_add_f32_e32 v26, v26, v29
	v_sub_f32_e32 v1, v1, v28
	v_add_f32_e32 v23, v23, v27
	v_sub_f32_e32 v17, v25, v17
	v_sub_f32_e32 v11, v11, v30
	v_add_f32_e32 v25, v26, v22
	v_sub_f32_e32 v27, v26, v22
	;; [unrolled: 3-line block ×3, first 2 shown]
	v_sub_f32_e32 v22, v22, v23
	v_sub_f32_e32 v17, v11, v17
	;; [unrolled: 1-line block ×3, first 2 shown]
	v_add_f32_e32 v23, v23, v25
	v_add_f32_e32 v11, v28, v11
	v_mul_f32_e32 v28, 0x3d64c772, v26
	v_mul_f32_e32 v29, 0xbf08b237, v29
	v_add_f32_e32 v25, v32, v23
	v_mul_f32_e32 v22, 0x3f4a47b2, v22
	v_mul_f32_e32 v30, 0x3f5ff5aa, v1
	v_fma_f32 v28, v27, s7, -v28
	s_mov_b32 s7, 0xbf3bfb3b
	v_fma_f32 v1, v1, s6, -v29
	s_mov_b32 s6, 0xbeae86e6
	v_fmamk_f32 v23, v23, 0xbf955555, v25
	v_fma_f32 v27, v27, s7, -v22
	v_fmac_f32_e32 v22, 0x3d64c772, v26
	v_fmamk_f32 v26, v17, 0x3eae86e6, v29
	v_fma_f32 v17, v17, s6, -v30
	v_add_f32_e32 v22, v22, v23
	v_add_f32_e32 v28, v28, v23
	;; [unrolled: 1-line block ×3, first 2 shown]
	v_fmac_f32_e32 v26, 0x3ee1c552, v11
	v_fmac_f32_e32 v17, 0x3ee1c552, v11
	;; [unrolled: 1-line block ×3, first 2 shown]
	v_sub_f32_e32 v11, v22, v26
	v_sub_f32_e32 v27, v23, v17
	v_add_f32_e32 v17, v17, v23
	v_add_u32_e32 v23, 0x1400, v7
	v_add_f32_e32 v29, v1, v28
	ds_write2_b32 v23, v25, v11 offset0:148 offset1:216
	v_add_u32_e32 v11, 0x1800, v7
	v_sub_f32_e32 v1, v28, v1
	v_add_f32_e32 v22, v26, v22
	ds_write2_b32 v11, v27, v29 offset0:28 offset1:96
	ds_write2_b32 v11, v1, v17 offset0:164 offset1:232
	ds_write_b32 v7, v22 offset:7344
.LBB0_23:
	s_or_b64 exec, exec, s[2:3]
	s_waitcnt lgkmcnt(0)
	s_barrier
	s_and_saveexec_b64 s[2:3], s[0:1]
	s_cbranch_execz .LBB0_25
; %bb.24:
	v_mul_u32_u24_e32 v1, 3, v0
	v_lshlrev_b32_e32 v1, 3, v1
	global_load_dwordx4 v[30:33], v1, s[4:5] offset:3672
	global_load_dwordx2 v[42:43], v1, s[4:5] offset:3688
	v_mul_u32_u24_e32 v1, 3, v52
	v_lshlrev_b32_e32 v1, 3, v1
	global_load_dwordx4 v[34:37], v1, s[4:5] offset:3672
	global_load_dwordx2 v[44:45], v1, s[4:5] offset:3688
	v_mul_u32_u24_e32 v39, 3, v74
	v_add_u32_e32 v11, 0x1400, v70
	v_add_u32_e32 v25, 0xc00, v70
	;; [unrolled: 1-line block ×5, first 2 shown]
	v_mov_b32_e32 v54, v20
	v_mov_b32_e32 v20, v9
	;; [unrolled: 1-line block ×3, first 2 shown]
	v_lshlrev_b32_e32 v9, 3, v39
	ds_read_b32 v22, v70 offset:7140
	ds_read_b32 v46, v78
	ds_read_b32 v7, v77
	;; [unrolled: 1-line block ×3, first 2 shown]
	ds_read2_b32 v[48:49], v70 offset1:119
	ds_read2_b32 v[28:29], v11 offset0:29 offset1:148
	ds_read2_b32 v[26:27], v25 offset0:65 offset1:184
	;; [unrolled: 1-line block ×5, first 2 shown]
	global_load_dwordx2 v[68:69], v9, s[4:5] offset:3688
	global_load_dwordx4 v[38:41], v9, s[4:5] offset:3672
	v_mul_u32_u24_e32 v23, 3, v76
	s_waitcnt lgkmcnt(3)
	v_mov_b32_e32 v70, v27
	v_mov_b32_e32 v72, v29
	;; [unrolled: 1-line block ×7, first 2 shown]
	s_movk_i32 s1, 0x1000
	v_lshl_add_u64 v[2:3], v[0:1], 3, v[2:3]
	v_add_co_u32_e32 v64, vcc, s1, v2
	s_movk_i32 s0, 0x2000
	s_nop 0
	v_addc_co_u32_e32 v65, vcc, 0, v3, vcc
	v_add_co_u32_e32 v66, vcc, s0, v2
	v_lshlrev_b32_e32 v5, 3, v23
	s_nop 0
	v_addc_co_u32_e32 v67, vcc, 0, v3, vcc
	s_movk_i32 s1, 0x3000
	s_mov_b64 s[2:3], 0x770
	s_waitcnt vmcnt(5)
	v_mov_b32_e32 v74, v33
	v_mov_b32_e32 v75, v32
	v_pk_mul_f32 v[46:47], v[30:31], v[46:47] op_sel_hi:[1,0]
	s_waitcnt vmcnt(4)
	v_pk_mul_f32 v[72:73], v[42:43], v[72:73] op_sel_hi:[1,0]
	s_waitcnt vmcnt(3)
	v_mov_b32_e32 v76, v37
	v_mov_b32_e32 v77, v36
	v_pk_mul_f32 v[70:71], v[70:71], v[74:75] op_sel_hi:[0,1]
	v_pk_fma_f32 v[74:75], v[24:25], v[30:31], v[46:47] op_sel:[0,0,1] op_sel_hi:[1,1,0] neg_lo:[0,0,1] neg_hi:[0,0,1]
	v_pk_fma_f32 v[24:25], v[24:25], v[30:31], v[46:47] op_sel:[0,0,1] op_sel_hi:[0,1,0]
	v_pk_fma_f32 v[20:21], v[20:21], v[42:43], v[72:73] op_sel:[0,0,1] op_sel_hi:[1,1,0] neg_lo:[0,0,1] neg_hi:[0,0,1]
	v_pk_fma_f32 v[30:31], v[56:57], v[42:43], v[72:73] op_sel:[0,0,1] op_sel_hi:[0,1,0]
	s_waitcnt lgkmcnt(2)
	v_pk_mul_f32 v[42:43], v[58:59], v[76:77] op_sel_hi:[0,1]
	v_pk_fma_f32 v[50:51], v[50:51], v[32:33], v[70:71] neg_lo:[0,0,1] neg_hi:[0,0,1]
	v_pk_fma_f32 v[32:33], v[52:53], v[32:33], v[70:71] op_sel_hi:[0,1,1]
	s_waitcnt lgkmcnt(1)
	v_pk_mul_f32 v[78:79], v[34:35], v[60:61] op_sel_hi:[1,0]
	v_mov_b32_e32 v75, v25
	v_mov_b32_e32 v21, v31
	v_pk_fma_f32 v[24:25], v[18:19], v[36:37], v[42:43] neg_lo:[0,0,1] neg_hi:[0,0,1]
	v_pk_fma_f32 v[30:31], v[18:19], v[36:37], v[42:43] op_sel_hi:[0,1,1]
	v_mov_b32_e32 v51, v33
	v_pk_fma_f32 v[46:47], v[12:13], v[34:35], v[78:79] op_sel:[0,0,1] op_sel_hi:[1,1,0] neg_lo:[0,0,1] neg_hi:[0,0,1]
	v_pk_fma_f32 v[34:35], v[12:13], v[34:35], v[78:79] op_sel:[0,0,1] op_sel_hi:[0,1,0]
	v_pk_add_f32 v[20:21], v[74:75], v[20:21] neg_lo:[0,1] neg_hi:[0,1]
	v_mov_b32_e32 v25, v31
	v_pk_add_f32 v[30:31], v[54:55], v[50:51] neg_lo:[0,1] neg_hi:[0,1]
	v_mov_b32_e32 v47, v35
	v_pk_fma_f32 v[32:33], v[74:75], 2.0, v[20:21] op_sel_hi:[1,0,1] neg_lo:[0,0,1] neg_hi:[0,0,1]
	v_pk_fma_f32 v[34:35], v[54:55], 2.0, v[30:31] op_sel_hi:[1,0,1] neg_lo:[0,0,1] neg_hi:[0,0,1]
	v_pk_add_f32 v[36:37], v[30:31], v[20:21] op_sel:[0,1] op_sel_hi:[1,0] neg_lo:[0,1] neg_hi:[0,1]
	v_pk_add_f32 v[20:21], v[30:31], v[20:21] op_sel:[0,1] op_sel_hi:[1,0]
	v_pk_add_f32 v[32:33], v[34:35], v[32:33] neg_lo:[0,1] neg_hi:[0,1]
	v_mov_b32_e32 v37, v21
	v_pk_fma_f32 v[20:21], v[34:35], 2.0, v[32:33] op_sel_hi:[1,0,1] neg_lo:[0,0,1] neg_hi:[0,0,1]
	v_pk_fma_f32 v[30:31], v[30:31], 2.0, v[36:37] op_sel_hi:[1,0,1] neg_lo:[0,0,1] neg_hi:[0,0,1]
	global_store_dwordx2 v[64:65], v[32:33], off offset:3520
	global_store_dwordx2 v[66:67], v[36:37], off offset:3232
	global_store_dwordx2 v[2:3], v[20:21], off
	global_store_dwordx2 v[2:3], v[30:31], off offset:3808
	global_load_dwordx2 v[36:37], v5, s[4:5] offset:3688
	s_nop 0
	global_load_dwordx4 v[30:33], v5, s[4:5] offset:3672
	s_waitcnt vmcnt(8) lgkmcnt(0)
	v_pk_mul_f32 v[80:81], v[44:45], v[62:63] op_sel_hi:[1,0]
	v_pk_add_f32 v[24:25], v[48:49], v[24:25] neg_lo:[0,1] neg_hi:[0,1]
	v_pk_fma_f32 v[56:57], v[14:15], v[44:45], v[80:81] op_sel:[0,0,1] op_sel_hi:[1,1,0] neg_lo:[0,0,1] neg_hi:[0,0,1]
	v_pk_fma_f32 v[20:21], v[14:15], v[44:45], v[80:81] op_sel:[0,0,1] op_sel_hi:[0,1,0]
	v_mov_b32_e32 v57, v21
	v_pk_add_f32 v[20:21], v[46:47], v[56:57] neg_lo:[0,1] neg_hi:[0,1]
	v_pk_fma_f32 v[34:35], v[48:49], 2.0, v[24:25] op_sel_hi:[1,0,1] neg_lo:[0,0,1] neg_hi:[0,0,1]
	v_pk_fma_f32 v[42:43], v[46:47], 2.0, v[20:21] op_sel_hi:[1,0,1] neg_lo:[0,0,1] neg_hi:[0,0,1]
	v_mov_b32_e32 v18, v59
	v_pk_add_f32 v[42:43], v[34:35], v[42:43] neg_lo:[0,1] neg_hi:[0,1]
	v_mov_b32_e32 v12, v19
	v_pk_fma_f32 v[34:35], v[34:35], 2.0, v[42:43] op_sel_hi:[1,0,1] neg_lo:[0,0,1] neg_hi:[0,0,1]
	global_store_dwordx2 v[2:3], v[34:35], off offset:952
	v_pk_add_f32 v[34:35], v[24:25], v[20:21] op_sel:[0,1] op_sel_hi:[1,0] neg_lo:[0,1] neg_hi:[0,1]
	v_pk_add_f32 v[20:21], v[24:25], v[20:21] op_sel:[0,1] op_sel_hi:[1,0]
	v_mov_b32_e32 v14, v19
	v_mov_b32_e32 v35, v21
	v_pk_fma_f32 v[20:21], v[24:25], 2.0, v[34:35] op_sel_hi:[1,0,1] neg_lo:[0,0,1] neg_hi:[0,0,1]
	global_store_dwordx2 v[64:65], v[20:21], off offset:664
	global_store_dwordx2 v[66:67], v[42:43], off offset:376
	v_add_co_u32_e32 v20, vcc, s1, v2
	v_add_u32_e32 v5, 0xee, v0
	s_nop 0
	v_addc_co_u32_e32 v21, vcc, 0, v3, vcc
	global_store_dwordx2 v[20:21], v[34:35], off offset:88
	s_waitcnt vmcnt(10)
	v_mov_b32_e32 v34, v41
	v_mov_b32_e32 v35, v40
	v_pk_mul_f32 v[18:19], v[18:19], v[34:35] op_sel_hi:[0,1]
	v_pk_fma_f32 v[34:35], v[12:13], v[40:41], v[18:19] neg_lo:[0,0,1] neg_hi:[0,0,1]
	v_pk_fma_f32 v[18:19], v[14:15], v[40:41], v[18:19] op_sel_hi:[0,1,1]
	v_mov_b32_e32 v35, v19
	v_mov_b32_e32 v12, v61
	v_pk_add_f32 v[18:19], v[16:17], v[34:35] neg_lo:[0,1] neg_hi:[0,1]
	v_pk_mul_f32 v[34:35], v[38:39], v[12:13] op_sel_hi:[1,0]
	v_mov_b32_e32 v12, v13
	v_mov_b32_e32 v14, v13
	v_pk_fma_f32 v[12:13], v[12:13], v[38:39], v[34:35] op_sel:[0,0,1] op_sel_hi:[1,1,0] neg_lo:[0,0,1] neg_hi:[0,0,1]
	v_pk_fma_f32 v[34:35], v[14:15], v[38:39], v[34:35] op_sel:[0,0,1] op_sel_hi:[0,1,0]
	v_mov_b32_e32 v14, v63
	v_mov_b32_e32 v13, v35
	v_pk_mul_f32 v[34:35], v[68:69], v[14:15] op_sel_hi:[1,0]
	v_mov_b32_e32 v14, v15
	v_mov_b32_e32 v38, v15
	v_pk_fma_f32 v[14:15], v[14:15], v[68:69], v[34:35] op_sel:[0,0,1] op_sel_hi:[1,1,0] neg_lo:[0,0,1] neg_hi:[0,0,1]
	v_pk_fma_f32 v[34:35], v[38:39], v[68:69], v[34:35] op_sel:[0,0,1] op_sel_hi:[0,1,0]
	s_mov_b32 s4, 0x44d72045
	v_mov_b32_e32 v15, v35
	v_mul_hi_u32 v5, v5, s4
	v_pk_add_f32 v[14:15], v[12:13], v[14:15] neg_lo:[0,1] neg_hi:[0,1]
	v_lshrrev_b32_e32 v5, 7, v5
	v_pk_fma_f32 v[16:17], v[16:17], 2.0, v[18:19] op_sel_hi:[1,0,1] neg_lo:[0,0,1] neg_hi:[0,0,1]
	v_pk_fma_f32 v[12:13], v[12:13], 2.0, v[14:15] op_sel_hi:[1,0,1] neg_lo:[0,0,1] neg_hi:[0,0,1]
	v_mul_u32_u24_e32 v20, 0x594, v5
	v_mov_b32_e32 v21, v1
	v_pk_add_f32 v[12:13], v[16:17], v[12:13] neg_lo:[0,1] neg_hi:[0,1]
	v_lshl_add_u64 v[20:21], v[20:21], 3, v[2:3]
	v_pk_fma_f32 v[16:17], v[16:17], 2.0, v[12:13] op_sel_hi:[1,0,1] neg_lo:[0,0,1] neg_hi:[0,0,1]
	global_store_dwordx2 v[20:21], v[16:17], off offset:1904
	v_pk_add_f32 v[16:17], v[18:19], v[14:15] op_sel:[0,1] op_sel_hi:[1,0] neg_lo:[0,1] neg_hi:[0,1]
	v_pk_add_f32 v[14:15], v[18:19], v[14:15] op_sel:[0,1] op_sel_hi:[1,0]
	v_lshl_add_u64 v[24:25], v[20:21], 0, s[2:3]
	v_mov_b32_e32 v17, v15
	v_pk_fma_f32 v[14:15], v[18:19], 2.0, v[16:17] op_sel_hi:[1,0,1] neg_lo:[0,0,1] neg_hi:[0,0,1]
	global_store_dwordx2 v[24:25], v[14:15], off offset:3808
	v_add_co_u32_e32 v14, vcc, s0, v20
	v_add_u32_e32 v0, 0x165, v0
	s_nop 0
	v_addc_co_u32_e32 v15, vcc, 0, v21, vcc
	global_store_dwordx2 v[14:15], v[12:13], off offset:1328
	v_add_co_u32_e32 v12, vcc, s1, v20
	v_mul_hi_u32 v0, v0, s4
	s_nop 0
	v_addc_co_u32_e32 v13, vcc, 0, v21, vcc
	global_store_dwordx2 v[12:13], v[16:17], off offset:1040
	v_lshrrev_b32_e32 v0, 7, v0
	v_mul_u32_u24_e32 v0, 0x594, v0
	v_lshl_add_u64 v[0:1], v[0:1], 3, v[2:3]
	s_waitcnt vmcnt(8)
	v_mov_b32_e32 v12, v33
	v_mov_b32_e32 v13, v32
	v_pk_mul_f32 v[12:13], v[28:29], v[12:13] op_sel_hi:[0,1]
	v_pk_fma_f32 v[14:15], v[8:9], v[32:33], v[12:13] neg_lo:[0,0,1] neg_hi:[0,0,1]
	v_pk_fma_f32 v[8:9], v[8:9], v[32:33], v[12:13] op_sel_hi:[0,1,1]
	v_mov_b32_e32 v15, v9
	v_pk_mul_f32 v[12:13], v[30:31], v[26:27] op_sel_hi:[1,0]
	v_pk_add_f32 v[8:9], v[6:7], v[14:15] neg_lo:[0,1] neg_hi:[0,1]
	v_pk_fma_f32 v[14:15], v[4:5], v[30:31], v[12:13] op_sel:[0,0,1] op_sel_hi:[1,1,0] neg_lo:[0,0,1] neg_hi:[0,0,1]
	v_pk_fma_f32 v[4:5], v[4:5], v[30:31], v[12:13] op_sel:[0,0,1] op_sel_hi:[0,1,0]
	v_mov_b32_e32 v15, v5
	v_pk_mul_f32 v[4:5], v[36:37], v[22:23] op_sel_hi:[1,0]
	v_pk_fma_f32 v[6:7], v[6:7], 2.0, v[8:9] op_sel_hi:[1,0,1] neg_lo:[0,0,1] neg_hi:[0,0,1]
	v_pk_fma_f32 v[12:13], v[10:11], v[36:37], v[4:5] op_sel:[0,0,1] op_sel_hi:[1,1,0] neg_lo:[0,0,1] neg_hi:[0,0,1]
	v_pk_fma_f32 v[4:5], v[10:11], v[36:37], v[4:5] op_sel:[0,0,1] op_sel_hi:[0,1,0]
	v_mov_b32_e32 v13, v5
	v_pk_add_f32 v[4:5], v[14:15], v[12:13] neg_lo:[0,1] neg_hi:[0,1]
	s_mov_b64 s[0:1], 0xb28
	v_pk_fma_f32 v[10:11], v[14:15], 2.0, v[4:5] op_sel_hi:[1,0,1] neg_lo:[0,0,1] neg_hi:[0,0,1]
	v_lshl_add_u64 v[2:3], v[0:1], 0, s[0:1]
	v_pk_add_f32 v[10:11], v[6:7], v[10:11] neg_lo:[0,1] neg_hi:[0,1]
	s_nop 0
	v_pk_fma_f32 v[6:7], v[6:7], 2.0, v[10:11] op_sel_hi:[1,0,1] neg_lo:[0,0,1] neg_hi:[0,0,1]
	global_store_dwordx2 v[0:1], v[6:7], off offset:2856
	v_pk_add_f32 v[6:7], v[8:9], v[4:5] op_sel:[0,1] op_sel_hi:[1,0] neg_lo:[0,1] neg_hi:[0,1]
	v_pk_add_f32 v[4:5], v[8:9], v[4:5] op_sel:[0,1] op_sel_hi:[1,0]
	s_nop 0
	v_mov_b32_e32 v7, v5
	v_pk_fma_f32 v[4:5], v[8:9], 2.0, v[6:7] op_sel_hi:[1,0,1] neg_lo:[0,0,1] neg_hi:[0,0,1]
	global_store_dwordx2 v[2:3], v[4:5], off offset:3808
	v_add_co_u32_e32 v2, vcc, 0x2000, v0
	s_nop 1
	v_addc_co_u32_e32 v3, vcc, 0, v1, vcc
	v_add_co_u32_e32 v0, vcc, 0x3000, v0
	global_store_dwordx2 v[2:3], v[10:11], off offset:2280
	s_nop 0
	v_addc_co_u32_e32 v1, vcc, 0, v1, vcc
	global_store_dwordx2 v[0:1], v[6:7], off offset:1992
.LBB0_25:
	s_endpgm
	.section	.rodata,"a",@progbits
	.p2align	6, 0x0
	.amdhsa_kernel fft_rtc_fwd_len1904_factors_17_2_2_7_4_wgs_119_tpt_119_halfLds_sp_ip_CI_unitstride_sbrr_dirReg
		.amdhsa_group_segment_fixed_size 0
		.amdhsa_private_segment_fixed_size 0
		.amdhsa_kernarg_size 88
		.amdhsa_user_sgpr_count 2
		.amdhsa_user_sgpr_dispatch_ptr 0
		.amdhsa_user_sgpr_queue_ptr 0
		.amdhsa_user_sgpr_kernarg_segment_ptr 1
		.amdhsa_user_sgpr_dispatch_id 0
		.amdhsa_user_sgpr_kernarg_preload_length 0
		.amdhsa_user_sgpr_kernarg_preload_offset 0
		.amdhsa_user_sgpr_private_segment_size 0
		.amdhsa_uses_dynamic_stack 0
		.amdhsa_enable_private_segment 0
		.amdhsa_system_sgpr_workgroup_id_x 1
		.amdhsa_system_sgpr_workgroup_id_y 0
		.amdhsa_system_sgpr_workgroup_id_z 0
		.amdhsa_system_sgpr_workgroup_info 0
		.amdhsa_system_vgpr_workitem_id 0
		.amdhsa_next_free_vgpr 123
		.amdhsa_next_free_sgpr 74
		.amdhsa_accum_offset 124
		.amdhsa_reserve_vcc 1
		.amdhsa_float_round_mode_32 0
		.amdhsa_float_round_mode_16_64 0
		.amdhsa_float_denorm_mode_32 3
		.amdhsa_float_denorm_mode_16_64 3
		.amdhsa_dx10_clamp 1
		.amdhsa_ieee_mode 1
		.amdhsa_fp16_overflow 0
		.amdhsa_tg_split 0
		.amdhsa_exception_fp_ieee_invalid_op 0
		.amdhsa_exception_fp_denorm_src 0
		.amdhsa_exception_fp_ieee_div_zero 0
		.amdhsa_exception_fp_ieee_overflow 0
		.amdhsa_exception_fp_ieee_underflow 0
		.amdhsa_exception_fp_ieee_inexact 0
		.amdhsa_exception_int_div_zero 0
	.end_amdhsa_kernel
	.text
.Lfunc_end0:
	.size	fft_rtc_fwd_len1904_factors_17_2_2_7_4_wgs_119_tpt_119_halfLds_sp_ip_CI_unitstride_sbrr_dirReg, .Lfunc_end0-fft_rtc_fwd_len1904_factors_17_2_2_7_4_wgs_119_tpt_119_halfLds_sp_ip_CI_unitstride_sbrr_dirReg
                                        ; -- End function
	.section	.AMDGPU.csdata,"",@progbits
; Kernel info:
; codeLenInByte = 13060
; NumSgprs: 80
; NumVgprs: 123
; NumAgprs: 0
; TotalNumVgprs: 123
; ScratchSize: 0
; MemoryBound: 0
; FloatMode: 240
; IeeeMode: 1
; LDSByteSize: 0 bytes/workgroup (compile time only)
; SGPRBlocks: 9
; VGPRBlocks: 15
; NumSGPRsForWavesPerEU: 80
; NumVGPRsForWavesPerEU: 123
; AccumOffset: 124
; Occupancy: 4
; WaveLimiterHint : 1
; COMPUTE_PGM_RSRC2:SCRATCH_EN: 0
; COMPUTE_PGM_RSRC2:USER_SGPR: 2
; COMPUTE_PGM_RSRC2:TRAP_HANDLER: 0
; COMPUTE_PGM_RSRC2:TGID_X_EN: 1
; COMPUTE_PGM_RSRC2:TGID_Y_EN: 0
; COMPUTE_PGM_RSRC2:TGID_Z_EN: 0
; COMPUTE_PGM_RSRC2:TIDIG_COMP_CNT: 0
; COMPUTE_PGM_RSRC3_GFX90A:ACCUM_OFFSET: 30
; COMPUTE_PGM_RSRC3_GFX90A:TG_SPLIT: 0
	.text
	.p2alignl 6, 3212836864
	.fill 256, 4, 3212836864
	.type	__hip_cuid_ad115f5bf7210494,@object ; @__hip_cuid_ad115f5bf7210494
	.section	.bss,"aw",@nobits
	.globl	__hip_cuid_ad115f5bf7210494
__hip_cuid_ad115f5bf7210494:
	.byte	0                               ; 0x0
	.size	__hip_cuid_ad115f5bf7210494, 1

	.ident	"AMD clang version 19.0.0git (https://github.com/RadeonOpenCompute/llvm-project roc-6.4.0 25133 c7fe45cf4b819c5991fe208aaa96edf142730f1d)"
	.section	".note.GNU-stack","",@progbits
	.addrsig
	.addrsig_sym __hip_cuid_ad115f5bf7210494
	.amdgpu_metadata
---
amdhsa.kernels:
  - .agpr_count:     0
    .args:
      - .actual_access:  read_only
        .address_space:  global
        .offset:         0
        .size:           8
        .value_kind:     global_buffer
      - .offset:         8
        .size:           8
        .value_kind:     by_value
      - .actual_access:  read_only
        .address_space:  global
        .offset:         16
        .size:           8
        .value_kind:     global_buffer
      - .actual_access:  read_only
        .address_space:  global
        .offset:         24
        .size:           8
        .value_kind:     global_buffer
      - .offset:         32
        .size:           8
        .value_kind:     by_value
      - .actual_access:  read_only
        .address_space:  global
        .offset:         40
        .size:           8
        .value_kind:     global_buffer
      - .actual_access:  read_only
        .address_space:  global
        .offset:         48
        .size:           8
        .value_kind:     global_buffer
      - .offset:         56
        .size:           4
        .value_kind:     by_value
      - .actual_access:  read_only
        .address_space:  global
        .offset:         64
        .size:           8
        .value_kind:     global_buffer
      - .actual_access:  read_only
        .address_space:  global
        .offset:         72
        .size:           8
        .value_kind:     global_buffer
      - .address_space:  global
        .offset:         80
        .size:           8
        .value_kind:     global_buffer
    .group_segment_fixed_size: 0
    .kernarg_segment_align: 8
    .kernarg_segment_size: 88
    .language:       OpenCL C
    .language_version:
      - 2
      - 0
    .max_flat_workgroup_size: 119
    .name:           fft_rtc_fwd_len1904_factors_17_2_2_7_4_wgs_119_tpt_119_halfLds_sp_ip_CI_unitstride_sbrr_dirReg
    .private_segment_fixed_size: 0
    .sgpr_count:     80
    .sgpr_spill_count: 0
    .symbol:         fft_rtc_fwd_len1904_factors_17_2_2_7_4_wgs_119_tpt_119_halfLds_sp_ip_CI_unitstride_sbrr_dirReg.kd
    .uniform_work_group_size: 1
    .uses_dynamic_stack: false
    .vgpr_count:     123
    .vgpr_spill_count: 0
    .wavefront_size: 64
amdhsa.target:   amdgcn-amd-amdhsa--gfx950
amdhsa.version:
  - 1
  - 2
...

	.end_amdgpu_metadata
